;; amdgpu-corpus repo=ROCm/rocFFT kind=compiled arch=gfx950 opt=O3
	.text
	.amdgcn_target "amdgcn-amd-amdhsa--gfx950"
	.amdhsa_code_object_version 6
	.protected	bluestein_single_back_len1694_dim1_sp_op_CI_CI ; -- Begin function bluestein_single_back_len1694_dim1_sp_op_CI_CI
	.globl	bluestein_single_back_len1694_dim1_sp_op_CI_CI
	.p2align	8
	.type	bluestein_single_back_len1694_dim1_sp_op_CI_CI,@function
bluestein_single_back_len1694_dim1_sp_op_CI_CI: ; @bluestein_single_back_len1694_dim1_sp_op_CI_CI
; %bb.0:
	s_load_dwordx4 s[12:15], s[0:1], 0x28
	v_mul_u32_u24_e32 v1, 0x1aa, v0
	v_mov_b32_e32 v71, 0
	v_add_u32_sdwa v80, s2, v1 dst_sel:DWORD dst_unused:UNUSED_PAD src0_sel:DWORD src1_sel:WORD_1
	v_mov_b32_e32 v81, v71
	s_waitcnt lgkmcnt(0)
	v_cmp_gt_u64_e32 vcc, s[12:13], v[80:81]
	s_and_saveexec_b64 s[2:3], vcc
	s_cbranch_execz .LBB0_20
; %bb.1:
	s_load_dwordx4 s[8:11], s[0:1], 0x18
	s_load_dwordx4 s[4:7], s[0:1], 0x0
	v_mov_b32_e32 v2, s14
	v_mov_b32_e32 v3, s15
	s_movk_i32 s2, 0x9a
	s_waitcnt lgkmcnt(0)
	s_load_dwordx4 s[12:15], s[8:9], 0x0
	v_mul_lo_u16_sdwa v1, v1, s2 dst_sel:DWORD dst_unused:UNUSED_PAD src0_sel:WORD_1 src1_sel:DWORD
	v_sub_u16_e32 v70, v0, v1
	v_mov_b32_e32 v26, 0x4d0
	v_lshlrev_b32_e32 v68, 3, v70
	s_waitcnt lgkmcnt(0)
	v_mad_u64_u32 v[0:1], s[2:3], s14, v80, 0
	v_mov_b32_e32 v4, v1
	v_mad_u64_u32 v[4:5], s[2:3], s15, v80, v[4:5]
	v_mov_b32_e32 v1, v4
	v_mad_u64_u32 v[4:5], s[2:3], s12, v70, 0
	v_mov_b32_e32 v6, v5
	v_mad_u64_u32 v[6:7], s[2:3], s13, v70, v[6:7]
	v_mov_b32_e32 v5, v6
	v_lshl_add_u64 v[0:1], v[0:1], 3, v[2:3]
	v_lshl_add_u64 v[0:1], v[4:5], 3, v[0:1]
	global_load_dwordx2 v[2:3], v[0:1], off
	v_mad_u64_u32 v[0:1], s[2:3], s12, v26, v[0:1]
	s_mul_i32 s8, s13, 0x4d0
	v_add_u32_e32 v1, s8, v1
	v_mad_u64_u32 v[6:7], s[2:3], s12, v26, v[0:1]
	v_add_u32_e32 v7, s8, v7
	v_mad_u64_u32 v[8:9], s[2:3], s12, v26, v[6:7]
	v_add_u32_e32 v9, s8, v9
	v_mov_b32_e32 v69, v71
	v_mad_u64_u32 v[10:11], s[2:3], s12, v26, v[8:9]
	v_lshl_add_u64 v[4:5], s[4:5], 0, v[68:69]
	v_add_u32_e32 v11, s8, v11
	s_movk_i32 s2, 0x1000
	global_load_dwordx2 v[94:95], v68, s[4:5]
	global_load_dwordx2 v[92:93], v68, s[4:5] offset:1232
	global_load_dwordx2 v[88:89], v68, s[4:5] offset:2464
	;; [unrolled: 1-line block ×3, first 2 shown]
	global_load_dwordx2 v[12:13], v[0:1], off
	global_load_dwordx2 v[14:15], v[6:7], off
	;; [unrolled: 1-line block ×4, first 2 shown]
	v_add_co_u32_e32 v0, vcc, s2, v4
	v_mad_u64_u32 v[6:7], s[2:3], s12, v26, v[10:11]
	v_add_u32_e32 v7, s8, v7
	v_addc_co_u32_e32 v1, vcc, 0, v5, vcc
	global_load_dwordx2 v[8:9], v[6:7], off
	global_load_dwordx2 v[90:91], v[0:1], off offset:832
	global_load_dwordx2 v[82:83], v[0:1], off offset:2064
	v_mad_u64_u32 v[6:7], s[2:3], s12, v26, v[6:7]
	v_add_u32_e32 v7, s8, v7
	global_load_dwordx2 v[10:11], v[6:7], off
	v_mad_u64_u32 v[6:7], s[2:3], s12, v26, v[6:7]
	s_movk_i32 s2, 0x2000
	v_add_u32_e32 v7, s8, v7
	v_add_co_u32_e32 v22, vcc, s2, v4
	global_load_dwordx2 v[20:21], v[6:7], off
	s_nop 0
	v_addc_co_u32_e32 v23, vcc, 0, v5, vcc
	global_load_dwordx2 v[86:87], v[0:1], off offset:3296
	global_load_dwordx2 v[76:77], v[22:23], off offset:432
	v_mad_u64_u32 v[0:1], s[2:3], s12, v26, v[6:7]
	v_add_u32_e32 v1, s8, v1
	global_load_dwordx2 v[6:7], v[0:1], off
	v_mad_u64_u32 v[0:1], s[2:3], s12, v26, v[0:1]
	v_add_u32_e32 v1, s8, v1
	global_load_dwordx2 v[24:25], v[0:1], off
	global_load_dwordx2 v[78:79], v[22:23], off offset:1664
	global_load_dwordx2 v[74:75], v[22:23], off offset:2896
	v_mad_u64_u32 v[0:1], s[2:3], s12, v26, v[0:1]
	s_movk_i32 s2, 0x3000
	s_nop 0
	v_add_co_u32_e32 v4, vcc, s2, v4
	v_add_u32_e32 v1, s8, v1
	s_nop 0
	v_addc_co_u32_e32 v5, vcc, 0, v5, vcc
	global_load_dwordx2 v[72:73], v[4:5], off offset:32
	global_load_dwordx2 v[22:23], v[0:1], off
	v_add_u32_e32 v69, 0x800, v68
	v_add_u32_e32 v4, 0x1200, v68
	s_load_dwordx4 s[8:11], s[10:11], 0x0
	s_mov_b32 s22, 0xbf0a6770
	s_mov_b32 s12, 0x3f575c64
	s_mov_b32 s28, 0xbf68dda4
	s_mov_b32 s2, 0x3ed4b147
	s_mov_b32 s16, 0xbf7d64f0
	s_mov_b32 s14, 0xbe11bafb
	s_mov_b32 s20, 0xbf4178ce
	s_mov_b32 s18, 0xbf27a4f4
	s_mov_b32 s26, 0xbe903f40
	s_mov_b32 s24, 0xbf75a155
	s_mov_b32 s30, 0x3f7d64f0
	s_mov_b32 s34, 0x3f0a6770
	s_waitcnt vmcnt(20)
	v_mul_f32_e32 v0, v3, v95
	v_mul_f32_e32 v1, v2, v95
	v_fmac_f32_e32 v0, v2, v94
	v_fma_f32 v1, v3, v94, -v1
	s_waitcnt vmcnt(16)
	v_mul_f32_e32 v2, v13, v93
	v_mul_f32_e32 v3, v12, v93
	v_fmac_f32_e32 v2, v12, v92
	v_fma_f32 v3, v13, v92, -v3
	ds_write2_b64 v68, v[0:1], v[2:3] offset1:154
	s_waitcnt vmcnt(15)
	v_mul_f32_e32 v0, v15, v89
	v_mul_f32_e32 v1, v14, v89
	s_waitcnt vmcnt(14)
	v_mul_f32_e32 v2, v17, v85
	v_mul_f32_e32 v3, v16, v85
	v_fmac_f32_e32 v0, v14, v88
	v_fma_f32 v1, v15, v88, -v1
	v_fmac_f32_e32 v2, v16, v84
	v_fma_f32 v3, v17, v84, -v3
	ds_write2_b64 v69, v[0:1], v[2:3] offset0:52 offset1:206
	s_waitcnt vmcnt(11)
	v_mul_f32_e32 v0, v19, v91
	v_mul_f32_e32 v1, v18, v91
	s_waitcnt vmcnt(10)
	v_mul_f32_e32 v2, v9, v83
	v_mul_f32_e32 v3, v8, v83
	v_fmac_f32_e32 v0, v18, v90
	v_fma_f32 v1, v19, v90, -v1
	v_fmac_f32_e32 v2, v8, v82
	v_fma_f32 v3, v9, v82, -v3
	ds_write2_b64 v4, v[0:1], v[2:3] offset0:40 offset1:194
	s_waitcnt vmcnt(7)
	v_mul_f32_e32 v0, v11, v87
	v_mul_f32_e32 v1, v10, v87
	s_waitcnt vmcnt(6)
	v_mul_f32_e32 v2, v21, v77
	v_mul_f32_e32 v3, v20, v77
	v_fmac_f32_e32 v0, v10, v86
	v_fma_f32 v1, v11, v86, -v1
	v_fmac_f32_e32 v2, v20, v76
	v_fma_f32 v3, v21, v76, -v3
	v_add_u32_e32 v8, 0x1c00, v68
	ds_write2_b64 v8, v[0:1], v[2:3] offset0:28 offset1:182
	s_waitcnt vmcnt(3)
	v_mul_f32_e32 v0, v7, v79
	v_mul_f32_e32 v1, v6, v79
	s_waitcnt vmcnt(2)
	v_mul_f32_e32 v2, v25, v75
	v_mul_f32_e32 v3, v24, v75
	v_fmac_f32_e32 v0, v6, v78
	v_fma_f32 v1, v7, v78, -v1
	v_fmac_f32_e32 v2, v24, v74
	v_fma_f32 v3, v25, v74, -v3
	v_add_u32_e32 v16, 0x2400, v68
	ds_write2_b64 v16, v[0:1], v[2:3] offset0:80 offset1:234
	s_waitcnt vmcnt(0)
	v_mul_f32_e32 v0, v23, v73
	v_mul_f32_e32 v1, v22, v73
	v_fmac_f32_e32 v0, v22, v72
	v_fma_f32 v1, v23, v72, -v1
	ds_write_b64 v68, v[0:1] offset:12320
	s_waitcnt lgkmcnt(0)
	s_barrier
	ds_read2_b64 v[4:7], v4 offset0:40 offset1:194
	ds_read2_b64 v[8:11], v8 offset0:28 offset1:182
	ds_read2_b64 v[0:3], v68 offset1:154
	ds_read2_b64 v[12:15], v69 offset0:52 offset1:206
	ds_read2_b64 v[16:19], v16 offset0:80 offset1:234
	ds_read_b64 v[20:21], v68 offset:12320
	s_waitcnt lgkmcnt(4)
	v_pk_add_f32 v[22:23], v[10:11], v[4:5]
	s_waitcnt lgkmcnt(3)
	v_pk_add_f32 v[28:29], v[0:1], v[2:3]
	v_pk_add_f32 v[24:25], v[4:5], v[10:11] neg_lo:[0,1] neg_hi:[0,1]
	s_waitcnt lgkmcnt(2)
	v_pk_add_f32 v[28:29], v[28:29], v[12:13]
	v_pk_add_f32 v[26:27], v[8:9], v[6:7]
	;; [unrolled: 1-line block ×3, first 2 shown]
	s_waitcnt lgkmcnt(0)
	v_pk_add_f32 v[4:5], v[28:29], v[4:5]
	v_pk_add_f32 v[28:29], v[18:19], v[12:13]
	;; [unrolled: 1-line block ×3, first 2 shown]
	v_pk_add_f32 v[6:7], v[6:7], v[8:9] neg_lo:[0,1] neg_hi:[0,1]
	v_pk_add_f32 v[4:5], v[4:5], v[8:9]
	v_pk_add_f32 v[8:9], v[12:13], v[18:19] neg_lo:[0,1] neg_hi:[0,1]
	v_pk_add_f32 v[4:5], v[4:5], v[10:11]
	v_pk_add_f32 v[10:11], v[16:17], v[14:15]
	v_pk_add_f32 v[12:13], v[14:15], v[16:17] neg_lo:[0,1] neg_hi:[0,1]
	v_pk_add_f32 v[14:15], v[20:21], v[2:3]
	v_pk_add_f32 v[4:5], v[4:5], v[16:17]
	v_pk_add_f32 v[2:3], v[2:3], v[20:21] neg_lo:[0,1] neg_hi:[0,1]
	v_pk_add_f32 v[4:5], v[4:5], v[18:19]
	v_pk_mul_f32 v[16:17], v[2:3], s[22:23] op_sel_hi:[1,0]
	v_pk_add_f32 v[4:5], v[4:5], v[20:21]
	v_pk_fma_f32 v[18:19], v[14:15], s[12:13], v[16:17] op_sel:[0,0,1] op_sel_hi:[1,0,0]
	v_pk_fma_f32 v[16:17], v[14:15], s[12:13], v[16:17] op_sel:[0,0,1] op_sel_hi:[1,0,0] neg_lo:[0,0,1] neg_hi:[0,0,1]
	v_pk_mul_f32 v[20:21], v[8:9], s[28:29] op_sel_hi:[1,0]
	v_mov_b32_e32 v33, v17
	v_pk_fma_f32 v[30:31], v[28:29], s[2:3], v[20:21] op_sel:[0,0,1] op_sel_hi:[1,0,0]
	v_pk_fma_f32 v[20:21], v[28:29], s[2:3], v[20:21] op_sel:[0,0,1] op_sel_hi:[1,0,0] neg_lo:[0,0,1] neg_hi:[0,0,1]
	v_mov_b32_e32 v17, v19
	v_pk_add_f32 v[16:17], v[0:1], v[16:17]
	v_mov_b32_e32 v19, v21
	v_mov_b32_e32 v21, v31
	v_pk_add_f32 v[16:17], v[20:21], v[16:17]
	v_pk_mul_f32 v[20:21], v[12:13], s[16:17] op_sel_hi:[1,0]
	s_barrier
	v_pk_fma_f32 v[34:35], v[10:11], s[14:15], v[20:21] op_sel:[0,0,1] op_sel_hi:[1,0,0]
	v_pk_fma_f32 v[20:21], v[10:11], s[14:15], v[20:21] op_sel:[0,0,1] op_sel_hi:[1,0,0] neg_lo:[0,0,1] neg_hi:[0,0,1]
	s_nop 0
	v_mov_b32_e32 v31, v21
	v_mov_b32_e32 v21, v35
	v_pk_add_f32 v[16:17], v[20:21], v[16:17]
	v_pk_mul_f32 v[20:21], v[24:25], s[20:21] op_sel_hi:[1,0]
	v_pk_mul_f32 v[40:41], v[8:9], s[20:21] op_sel_hi:[1,0]
	v_pk_fma_f32 v[36:37], v[22:23], s[18:19], v[20:21] op_sel:[0,0,1] op_sel_hi:[1,0,0]
	v_pk_fma_f32 v[20:21], v[22:23], s[18:19], v[20:21] op_sel:[0,0,1] op_sel_hi:[1,0,0] neg_lo:[0,0,1] neg_hi:[0,0,1]
	v_pk_fma_f32 v[42:43], v[28:29], s[18:19], v[40:41] op_sel:[0,0,1] op_sel_hi:[1,0,0] neg_lo:[0,0,1] neg_hi:[0,0,1]
	v_mov_b32_e32 v35, v21
	v_mov_b32_e32 v21, v37
	v_pk_add_f32 v[16:17], v[20:21], v[16:17]
	v_pk_mul_f32 v[20:21], v[6:7], s[26:27] op_sel_hi:[1,0]
	v_pk_fma_f32 v[40:41], v[28:29], s[18:19], v[40:41] op_sel:[0,0,1] op_sel_hi:[1,0,0]
	v_pk_fma_f32 v[38:39], v[26:27], s[24:25], v[20:21] op_sel:[0,0,1] op_sel_hi:[1,0,0]
	v_pk_fma_f32 v[20:21], v[26:27], s[24:25], v[20:21] op_sel:[0,0,1] op_sel_hi:[1,0,0] neg_lo:[0,0,1] neg_hi:[0,0,1]
	v_mov_b32_e32 v44, v42
	v_mov_b32_e32 v37, v21
	;; [unrolled: 1-line block ×3, first 2 shown]
	v_pk_add_f32 v[16:17], v[20:21], v[16:17]
	v_mul_lo_u16_e32 v20, 11, v70
	v_lshlrev_b32_e32 v81, 3, v20
	ds_write2_b64 v81, v[4:5], v[16:17] offset1:1
	v_pk_mul_f32 v[4:5], v[2:3], s[28:29] op_sel_hi:[1,0]
	v_mov_b32_e32 v45, v41
	v_pk_fma_f32 v[16:17], v[14:15], s[2:3], v[4:5] op_sel:[0,0,1] op_sel_hi:[1,0,0] neg_lo:[0,0,1] neg_hi:[0,0,1]
	v_pk_fma_f32 v[4:5], v[14:15], s[2:3], v[4:5] op_sel:[0,0,1] op_sel_hi:[1,0,0]
	v_mov_b32_e32 v20, v16
	v_mov_b32_e32 v21, v5
	v_pk_add_f32 v[20:21], v[0:1], v[20:21]
	s_mov_b32 s28, 0x3e903f40
	v_pk_add_f32 v[20:21], v[44:45], v[20:21]
	v_pk_mul_f32 v[44:45], v[12:13], s[28:29] op_sel_hi:[1,0]
	v_pk_mul_f32 v[62:63], v[8:9], s[28:29] op_sel_hi:[1,0]
	v_pk_fma_f32 v[46:47], v[10:11], s[24:25], v[44:45] op_sel:[0,0,1] op_sel_hi:[1,0,0] neg_lo:[0,0,1] neg_hi:[0,0,1]
	v_pk_fma_f32 v[44:45], v[10:11], s[24:25], v[44:45] op_sel:[0,0,1] op_sel_hi:[1,0,0]
	v_mov_b32_e32 v48, v46
	v_mov_b32_e32 v49, v45
	v_pk_add_f32 v[20:21], v[48:49], v[20:21]
	v_pk_mul_f32 v[48:49], v[24:25], s[30:31] op_sel_hi:[1,0]
	v_pk_fma_f32 v[64:65], v[28:29], s[24:25], v[62:63] op_sel:[0,0,1] op_sel_hi:[1,0,0] neg_lo:[0,0,1] neg_hi:[0,0,1]
	v_pk_fma_f32 v[50:51], v[22:23], s[14:15], v[48:49] op_sel:[0,0,1] op_sel_hi:[1,0,0] neg_lo:[0,0,1] neg_hi:[0,0,1]
	v_pk_fma_f32 v[48:49], v[22:23], s[14:15], v[48:49] op_sel:[0,0,1] op_sel_hi:[1,0,0]
	v_mov_b32_e32 v52, v50
	v_mov_b32_e32 v53, v49
	v_pk_add_f32 v[20:21], v[52:53], v[20:21]
	v_pk_mul_f32 v[52:53], v[6:7], s[34:35] op_sel_hi:[1,0]
	v_pk_fma_f32 v[62:63], v[28:29], s[24:25], v[62:63] op_sel:[0,0,1] op_sel_hi:[1,0,0]
	v_pk_fma_f32 v[54:55], v[26:27], s[12:13], v[52:53] op_sel:[0,0,1] op_sel_hi:[1,0,0] neg_lo:[0,0,1] neg_hi:[0,0,1]
	v_pk_fma_f32 v[52:53], v[26:27], s[12:13], v[52:53] op_sel:[0,0,1] op_sel_hi:[1,0,0]
	v_mov_b32_e32 v56, v54
	v_mov_b32_e32 v57, v53
	v_pk_add_f32 v[20:21], v[56:57], v[20:21]
	v_pk_mul_f32 v[56:57], v[2:3], s[16:17] op_sel_hi:[1,0]
	v_mov_b32_e32 v66, v64
	v_pk_fma_f32 v[58:59], v[14:15], s[14:15], v[56:57] op_sel:[0,0,1] op_sel_hi:[1,0,0] neg_lo:[0,0,1] neg_hi:[0,0,1]
	v_pk_fma_f32 v[56:57], v[14:15], s[14:15], v[56:57] op_sel:[0,0,1] op_sel_hi:[1,0,0]
	v_mov_b32_e32 v60, v58
	v_mov_b32_e32 v61, v57
	v_pk_add_f32 v[60:61], v[0:1], v[60:61]
	v_mov_b32_e32 v67, v63
	s_mov_b32 s28, 0x3f68dda4
	v_pk_add_f32 v[60:61], v[66:67], v[60:61]
	v_pk_mul_f32 v[66:67], v[12:13], s[28:29] op_sel_hi:[1,0]
	v_pk_mul_f32 v[108:109], v[8:9], s[30:31] op_sel_hi:[1,0]
	v_pk_fma_f32 v[96:97], v[10:11], s[2:3], v[66:67] op_sel:[0,0,1] op_sel_hi:[1,0,0] neg_lo:[0,0,1] neg_hi:[0,0,1]
	v_pk_fma_f32 v[66:67], v[10:11], s[2:3], v[66:67] op_sel:[0,0,1] op_sel_hi:[1,0,0]
	v_mov_b32_e32 v98, v96
	v_mov_b32_e32 v99, v67
	v_pk_add_f32 v[60:61], v[98:99], v[60:61]
	v_pk_mul_f32 v[98:99], v[24:25], s[22:23] op_sel_hi:[1,0]
	v_pk_fma_f32 v[110:111], v[28:29], s[14:15], v[108:109] op_sel:[0,0,1] op_sel_hi:[1,0,0] neg_lo:[0,0,1] neg_hi:[0,0,1]
	v_pk_fma_f32 v[100:101], v[22:23], s[12:13], v[98:99] op_sel:[0,0,1] op_sel_hi:[1,0,0] neg_lo:[0,0,1] neg_hi:[0,0,1]
	v_pk_fma_f32 v[98:99], v[22:23], s[12:13], v[98:99] op_sel:[0,0,1] op_sel_hi:[1,0,0]
	v_mov_b32_e32 v102, v100
	v_mov_b32_e32 v103, v99
	v_pk_add_f32 v[60:61], v[102:103], v[60:61]
	v_pk_mul_f32 v[102:103], v[6:7], s[20:21] op_sel_hi:[1,0]
	v_pk_fma_f32 v[108:109], v[28:29], s[14:15], v[108:109] op_sel:[0,0,1] op_sel_hi:[1,0,0]
	v_pk_fma_f32 v[104:105], v[26:27], s[18:19], v[102:103] op_sel:[0,0,1] op_sel_hi:[1,0,0] neg_lo:[0,0,1] neg_hi:[0,0,1]
	v_pk_fma_f32 v[102:103], v[26:27], s[18:19], v[102:103] op_sel:[0,0,1] op_sel_hi:[1,0,0]
	v_mov_b32_e32 v106, v104
	v_mov_b32_e32 v107, v103
	v_pk_add_f32 v[60:61], v[106:107], v[60:61]
	ds_write2_b64 v81, v[20:21], v[60:61] offset0:2 offset1:3
	v_pk_mul_f32 v[20:21], v[2:3], s[20:21] op_sel_hi:[1,0]
	v_mov_b32_e32 v112, v110
	v_pk_fma_f32 v[60:61], v[14:15], s[18:19], v[20:21] op_sel:[0,0,1] op_sel_hi:[1,0,0] neg_lo:[0,0,1] neg_hi:[0,0,1]
	v_pk_fma_f32 v[20:21], v[14:15], s[18:19], v[20:21] op_sel:[0,0,1] op_sel_hi:[1,0,0]
	v_mov_b32_e32 v106, v60
	v_mov_b32_e32 v107, v21
	v_pk_add_f32 v[106:107], v[0:1], v[106:107]
	v_mov_b32_e32 v113, v109
	v_pk_add_f32 v[106:107], v[112:113], v[106:107]
	v_pk_mul_f32 v[112:113], v[12:13], s[22:23] op_sel_hi:[1,0]
	v_pk_mul_f32 v[2:3], v[2:3], s[26:27] op_sel_hi:[1,0]
	v_pk_fma_f32 v[114:115], v[10:11], s[12:13], v[112:113] op_sel:[0,0,1] op_sel_hi:[1,0,0] neg_lo:[0,0,1] neg_hi:[0,0,1]
	v_pk_fma_f32 v[112:113], v[10:11], s[12:13], v[112:113] op_sel:[0,0,1] op_sel_hi:[1,0,0]
	v_mov_b32_e32 v116, v114
	v_mov_b32_e32 v117, v113
	v_pk_add_f32 v[106:107], v[116:117], v[106:107]
	v_pk_mul_f32 v[116:117], v[24:25], s[26:27] op_sel_hi:[1,0]
	v_pk_mul_f32 v[8:9], v[8:9], s[34:35] op_sel_hi:[1,0]
	v_pk_fma_f32 v[118:119], v[22:23], s[24:25], v[116:117] op_sel:[0,0,1] op_sel_hi:[1,0,0] neg_lo:[0,0,1] neg_hi:[0,0,1]
	v_pk_fma_f32 v[116:117], v[22:23], s[24:25], v[116:117] op_sel:[0,0,1] op_sel_hi:[1,0,0]
	v_mov_b32_e32 v120, v118
	;; [unrolled: 7-line block ×3, first 2 shown]
	v_mov_b32_e32 v125, v121
	v_pk_add_f32 v[106:107], v[124:125], v[106:107]
	v_pk_fma_f32 v[124:125], v[14:15], s[24:25], v[2:3] op_sel:[0,0,1] op_sel_hi:[1,0,0] neg_lo:[0,0,1] neg_hi:[0,0,1]
	v_pk_fma_f32 v[2:3], v[14:15], s[24:25], v[2:3] op_sel:[0,0,1] op_sel_hi:[1,0,0]
	v_pk_fma_f32 v[14:15], v[28:29], s[12:13], v[8:9] op_sel:[0,0,1] op_sel_hi:[1,0,0] neg_lo:[0,0,1] neg_hi:[0,0,1]
	v_pk_fma_f32 v[8:9], v[28:29], s[12:13], v[8:9] op_sel:[0,0,1] op_sel_hi:[1,0,0]
	v_mov_b32_e32 v28, v124
	v_mov_b32_e32 v29, v3
	v_pk_add_f32 v[28:29], v[0:1], v[28:29]
	v_mov_b32_e32 v126, v14
	v_mov_b32_e32 v127, v9
	v_pk_add_f32 v[28:29], v[126:127], v[28:29]
	v_pk_fma_f32 v[126:127], v[10:11], s[18:19], v[12:13] op_sel:[0,0,1] op_sel_hi:[1,0,0] neg_lo:[0,0,1] neg_hi:[0,0,1]
	v_pk_fma_f32 v[10:11], v[10:11], s[18:19], v[12:13] op_sel:[0,0,1] op_sel_hi:[1,0,0]
	v_mov_b32_e32 v12, v126
	v_mov_b32_e32 v13, v11
	v_pk_mul_f32 v[24:25], v[24:25], s[28:29] op_sel_hi:[1,0]
	v_mov_b32_e32 v3, v125
	v_pk_add_f32 v[12:13], v[12:13], v[28:29]
	v_pk_fma_f32 v[28:29], v[22:23], s[2:3], v[24:25] op_sel:[0,0,1] op_sel_hi:[1,0,0] neg_lo:[0,0,1] neg_hi:[0,0,1]
	v_pk_fma_f32 v[22:23], v[22:23], s[2:3], v[24:25] op_sel:[0,0,1] op_sel_hi:[1,0,0]
	v_mov_b32_e32 v9, v15
	v_pk_add_f32 v[2:3], v[0:1], v[2:3]
	v_mov_b32_e32 v24, v28
	v_mov_b32_e32 v25, v23
	v_pk_mul_f32 v[6:7], v[6:7], s[16:17] op_sel_hi:[1,0]
	v_pk_add_f32 v[2:3], v[8:9], v[2:3]
	v_mov_b32_e32 v11, v127
	v_pk_add_f32 v[12:13], v[24:25], v[12:13]
	v_pk_fma_f32 v[24:25], v[26:27], s[14:15], v[6:7] op_sel:[0,0,1] op_sel_hi:[1,0,0] neg_lo:[0,0,1] neg_hi:[0,0,1]
	v_pk_fma_f32 v[6:7], v[26:27], s[14:15], v[6:7] op_sel:[0,0,1] op_sel_hi:[1,0,0]
	v_pk_add_f32 v[2:3], v[10:11], v[2:3]
	v_mov_b32_e32 v23, v29
	v_mov_b32_e32 v27, v7
	v_pk_add_f32 v[2:3], v[22:23], v[2:3]
	v_mov_b32_e32 v7, v25
	v_mov_b32_e32 v21, v61
	v_pk_add_f32 v[2:3], v[6:7], v[2:3]
	v_mov_b32_e32 v109, v111
	v_pk_add_f32 v[6:7], v[0:1], v[20:21]
	;; [unrolled: 2-line block ×6, first 2 shown]
	ds_write2_b64 v81, v[2:3], v[6:7] offset0:6 offset1:7
	v_mov_b32_e32 v18, v30
	v_pk_add_f32 v[2:3], v[0:1], v[32:33]
	v_mov_b32_e32 v30, v34
	v_pk_add_f32 v[2:3], v[18:19], v[2:3]
	;; [unrolled: 2-line block ×4, first 2 shown]
	v_mov_b32_e32 v57, v59
	v_mov_b32_e32 v5, v17
	v_pk_add_f32 v[20:21], v[36:37], v[2:3]
	v_mov_b32_e32 v63, v65
	v_pk_add_f32 v[2:3], v[0:1], v[56:57]
	v_pk_add_f32 v[0:1], v[0:1], v[4:5]
	v_mov_b32_e32 v41, v43
	v_pk_add_f32 v[2:3], v[62:63], v[2:3]
	v_mov_b32_e32 v67, v97
	;; [unrolled: 2-line block ×5, first 2 shown]
	v_mov_b32_e32 v26, v24
	v_pk_add_f32 v[2:3], v[98:99], v[2:3]
	v_mov_b32_e32 v103, v105
	v_pk_add_f32 v[0:1], v[48:49], v[0:1]
	;; [unrolled: 2-line block ×3, first 2 shown]
	v_pk_add_f32 v[2:3], v[102:103], v[2:3]
	v_pk_add_f32 v[0:1], v[52:53], v[0:1]
	ds_write2_b64 v81, v[106:107], v[12:13] offset0:4 offset1:5
	ds_write2_b64 v81, v[2:3], v[0:1] offset0:8 offset1:9
	ds_write_b64 v81, v[20:21] offset:80
	v_add_u32_e32 v0, 0x1300, v68
	v_add_u32_e32 v4, 0x1e00, v68
	s_waitcnt lgkmcnt(0)
	s_barrier
	ds_read2_b64 v[12:15], v68 offset1:154
	ds_read2_b64 v[0:3], v0 offset0:8 offset1:239
	ds_read2_b64 v[16:19], v4 offset0:41 offset1:195
	;; [unrolled: 1-line block ×3, first 2 shown]
	v_add_u32_e32 v4, 0x2800, v68
	s_load_dwordx2 s[12:13], s[0:1], 0x38
	ds_read2_b64 v[4:7], v4 offset0:29 offset1:183
	s_movk_i32 s0, 0x4d
	v_cmp_gt_u16_e32 vcc, s0, v70
                                        ; implicit-def: $vgpr22
                                        ; implicit-def: $vgpr26
	s_and_saveexec_b64 s[0:1], vcc
	s_cbranch_execz .LBB0_3
; %bb.2:
	ds_read_b64 v[22:23], v68 offset:12936
	ds_read_b64 v[20:21], v68 offset:6160
	s_waitcnt lgkmcnt(0)
	v_mov_b32_e32 v26, v23
.LBB0_3:
	s_or_b64 exec, exec, s[0:1]
	s_mov_b64 s[0:1], 0x9a
	v_lshl_add_u64 v[24:25], v[70:71], 0, s[0:1]
	s_mov_b64 s[0:1], 0x134
	v_lshl_add_u64 v[28:29], v[70:71], 0, s[0:1]
	;; [unrolled: 2-line block ×3, first 2 shown]
	s_movk_i32 s0, 0x75
	v_mul_lo_u16_sdwa v23, v70, s0 dst_sel:DWORD dst_unused:UNUSED_PAD src0_sel:BYTE_0 src1_sel:DWORD
	v_add_u16_e32 v36, 0x302, v70
	v_sub_u16_sdwa v25, v70, v23 dst_sel:DWORD dst_unused:UNUSED_PAD src0_sel:DWORD src1_sel:BYTE_1
	v_mul_u32_u24_e32 v37, 0xba2f, v36
	v_lshrrev_b16_e32 v25, 1, v25
	v_lshrrev_b32_e32 v140, 19, v37
	v_and_b32_e32 v25, 0x7f, v25
	v_mul_lo_u16_e32 v37, 11, v140
	v_add_u16_sdwa v23, v25, v23 dst_sel:DWORD dst_unused:UNUSED_PAD src0_sel:DWORD src1_sel:BYTE_1
	s_mov_b32 s2, 0xba2f
	v_sub_u16_e32 v141, v36, v37
	v_lshrrev_b16_e32 v23, 3, v23
	v_mul_u32_u24_sdwa v29, v24, s2 dst_sel:DWORD dst_unused:UNUSED_PAD src0_sel:WORD_0 src1_sel:DWORD
	v_mul_u32_u24_sdwa v33, v28, s2 dst_sel:DWORD dst_unused:UNUSED_PAD src0_sel:WORD_0 src1_sel:DWORD
	v_lshlrev_b32_e32 v36, 3, v141
	v_mul_lo_u16_e32 v25, 11, v23
	v_lshrrev_b32_e32 v31, 19, v29
	v_lshrrev_b32_e32 v33, 19, v33
	v_mul_u32_u24_sdwa v35, v30, s2 dst_sel:DWORD dst_unused:UNUSED_PAD src0_sel:WORD_0 src1_sel:DWORD
	global_load_dwordx2 v[96:97], v36, s[6:7]
	v_sub_u16_e32 v25, v70, v25
	v_mul_lo_u16_e32 v29, 11, v31
	v_mul_lo_u16_e32 v34, 11, v33
	v_lshrrev_b32_e32 v35, 19, v35
	v_and_b32_e32 v25, 0xff, v25
	v_sub_u16_e32 v32, v24, v29
	v_sub_u16_e32 v34, v28, v34
	v_mul_lo_u16_e32 v36, 11, v35
	v_lshlrev_b32_e32 v27, 3, v25
	v_lshlrev_b32_e32 v29, 3, v32
	v_lshlrev_b32_e32 v28, 3, v34
	v_sub_u16_e32 v30, v30, v36
	s_mov_b64 s[0:1], 0x268
	v_lshlrev_b32_e32 v36, 3, v30
	global_load_dwordx2 v[104:105], v27, s[6:7]
	global_load_dwordx2 v[102:103], v29, s[6:7]
	;; [unrolled: 1-line block ×4, first 2 shown]
	v_lshl_add_u64 v[28:29], v[70:71], 0, s[0:1]
	v_mul_u32_u24_sdwa v27, v28, s2 dst_sel:DWORD dst_unused:UNUSED_PAD src0_sel:WORD_0 src1_sel:DWORD
	v_lshrrev_b32_e32 v36, 19, v27
	v_mul_lo_u16_e32 v27, 11, v36
	v_sub_u16_e32 v37, v28, v27
	v_lshlrev_b32_e32 v27, 3, v37
	global_load_dwordx2 v[106:107], v27, s[6:7]
	v_mad_legacy_u16 v27, v31, 22, v32
	v_mad_legacy_u16 v28, v33, 22, v34
	;; [unrolled: 1-line block ×3, first 2 shown]
	v_mul_u32_u24_e32 v23, 22, v23
	v_lshlrev_b32_e32 v143, 3, v27
	v_lshlrev_b32_e32 v142, 3, v28
	;; [unrolled: 1-line block ×3, first 2 shown]
	v_add_lshl_u32 v144, v23, v25, 3
	s_waitcnt lgkmcnt(0)
	s_barrier
	s_waitcnt vmcnt(5)
	v_pk_mul_f32 v[26:27], v[26:27], v[96:97] op_sel_hi:[0,1]
	v_pk_fma_f32 v[28:29], v[22:23], v[96:97], v[26:27] op_sel:[0,0,1] op_sel_hi:[1,1,0] neg_lo:[0,0,1] neg_hi:[0,0,1]
	v_pk_fma_f32 v[22:23], v[22:23], v[96:97], v[26:27] op_sel:[0,0,1] op_sel_hi:[0,1,0]
	v_mov_b32_e32 v29, v23
	v_pk_add_f32 v[44:45], v[20:21], v[28:29] neg_lo:[0,1] neg_hi:[0,1]
	s_waitcnt vmcnt(4)
	v_pk_mul_f32 v[22:23], v[2:3], v[104:105] op_sel:[0,1]
	s_waitcnt vmcnt(3)
	v_pk_mul_f32 v[26:27], v[16:17], v[102:103] op_sel:[0,1]
	;; [unrolled: 2-line block ×3, first 2 shown]
	v_pk_fma_f32 v[32:33], v[2:3], v[104:105], v[22:23] op_sel:[0,0,1] op_sel_hi:[1,1,0] neg_lo:[0,0,1] neg_hi:[0,0,1]
	v_pk_fma_f32 v[2:3], v[2:3], v[104:105], v[22:23] op_sel:[0,0,1] op_sel_hi:[1,0,0]
	s_waitcnt vmcnt(1)
	v_pk_mul_f32 v[30:31], v[4:5], v[98:99] op_sel:[0,1]
	v_pk_fma_f32 v[22:23], v[16:17], v[102:103], v[26:27] op_sel:[0,0,1] op_sel_hi:[1,1,0] neg_lo:[0,0,1] neg_hi:[0,0,1]
	v_pk_fma_f32 v[16:17], v[16:17], v[102:103], v[26:27] op_sel:[0,0,1] op_sel_hi:[1,0,0]
	v_pk_fma_f32 v[26:27], v[18:19], v[100:101], v[28:29] op_sel:[0,0,1] op_sel_hi:[1,1,0] neg_lo:[0,0,1] neg_hi:[0,0,1]
	v_pk_fma_f32 v[18:19], v[18:19], v[100:101], v[28:29] op_sel:[0,0,1] op_sel_hi:[1,0,0]
	v_mov_b32_e32 v33, v3
	v_pk_fma_f32 v[28:29], v[4:5], v[98:99], v[30:31] op_sel:[0,0,1] op_sel_hi:[1,1,0] neg_lo:[0,0,1] neg_hi:[0,0,1]
	v_pk_fma_f32 v[4:5], v[4:5], v[98:99], v[30:31] op_sel:[0,0,1] op_sel_hi:[1,0,0]
	v_mov_b32_e32 v23, v17
	v_mov_b32_e32 v27, v19
	v_pk_add_f32 v[2:3], v[12:13], v[32:33] neg_lo:[0,1] neg_hi:[0,1]
	v_mov_b32_e32 v29, v5
	v_pk_add_f32 v[4:5], v[14:15], v[22:23] neg_lo:[0,1] neg_hi:[0,1]
	v_pk_add_f32 v[16:17], v[8:9], v[26:27] neg_lo:[0,1] neg_hi:[0,1]
	v_pk_fma_f32 v[12:13], v[12:13], 2.0, v[2:3] op_sel_hi:[1,0,1] neg_lo:[0,0,1] neg_hi:[0,0,1]
	v_pk_fma_f32 v[14:15], v[14:15], 2.0, v[4:5] op_sel_hi:[1,0,1] neg_lo:[0,0,1] neg_hi:[0,0,1]
	;; [unrolled: 1-line block ×3, first 2 shown]
	ds_write2_b64 v144, v[12:13], v[2:3] offset1:11
	ds_write2_b64 v143, v[14:15], v[4:5] offset1:11
	;; [unrolled: 1-line block ×3, first 2 shown]
	v_pk_add_f32 v[2:3], v[10:11], v[28:29] neg_lo:[0,1] neg_hi:[0,1]
	s_nop 0
	v_pk_fma_f32 v[4:5], v[10:11], 2.0, v[2:3] op_sel_hi:[1,0,1] neg_lo:[0,0,1] neg_hi:[0,0,1]
	ds_write2_b64 v71, v[4:5], v[2:3] offset1:11
	v_mad_legacy_u16 v2, v36, 22, v37
	v_lshlrev_b32_e32 v146, 3, v2
	s_waitcnt vmcnt(0)
	v_pk_mul_f32 v[2:3], v[6:7], v[106:107] op_sel:[0,1]
	s_nop 0
	v_pk_fma_f32 v[4:5], v[6:7], v[106:107], v[2:3] op_sel:[0,0,1] op_sel_hi:[1,1,0] neg_lo:[0,0,1] neg_hi:[0,0,1]
	v_pk_fma_f32 v[2:3], v[6:7], v[106:107], v[2:3] op_sel:[0,0,1] op_sel_hi:[1,0,0]
	s_nop 0
	v_mov_b32_e32 v5, v3
	v_pk_add_f32 v[2:3], v[0:1], v[4:5] neg_lo:[0,1] neg_hi:[0,1]
	s_nop 0
	v_pk_fma_f32 v[0:1], v[0:1], 2.0, v[2:3] op_sel_hi:[1,0,1] neg_lo:[0,0,1] neg_hi:[0,0,1]
	ds_write2_b64 v146, v[0:1], v[2:3] offset1:11
	s_and_saveexec_b64 s[0:1], vcc
	s_cbranch_execz .LBB0_5
; %bb.4:
	v_mad_legacy_u16 v0, v140, 22, v141
	v_lshlrev_b32_e32 v2, 3, v0
	v_pk_fma_f32 v[0:1], v[20:21], 2.0, v[44:45] op_sel_hi:[1,0,1] neg_lo:[0,0,1] neg_hi:[0,0,1]
	ds_write2_b64 v2, v[0:1], v[44:45] offset1:11
.LBB0_5:
	s_or_b64 exec, exec, s[0:1]
	v_lshrrev_b16_e32 v0, 1, v70
	v_and_b32_e32 v0, 0x7f, v0
	v_mul_lo_u16_e32 v0, 0xbb, v0
	v_lshrrev_b16_e32 v69, 11, v0
	v_mul_lo_u16_e32 v0, 22, v69
	v_sub_u16_e32 v0, v70, v0
	v_and_b32_e32 v109, 0xff, v0
	s_movk_i32 s0, 0x50
	v_mov_b64_e32 v[0:1], s[6:7]
	v_mad_u64_u32 v[20:21], s[0:1], v109, s0, v[0:1]
	s_waitcnt lgkmcnt(0)
	s_barrier
	global_load_dwordx4 v[16:19], v[20:21], off offset:88
	global_load_dwordx4 v[12:15], v[20:21], off offset:104
	;; [unrolled: 1-line block ×5, first 2 shown]
	ds_read2_b64 v[20:23], v68 offset1:154
	v_add_u32_e32 v25, 0x800, v68
	v_add_u32_e32 v30, 0x2400, v68
	;; [unrolled: 1-line block ×4, first 2 shown]
	ds_read2_b64 v[26:29], v25 offset0:52 offset1:206
	ds_read2_b64 v[30:33], v30 offset0:80 offset1:234
	;; [unrolled: 1-line block ×4, first 2 shown]
	ds_read_b64 v[118:119], v68 offset:12320
	s_mov_b32 s20, 0xbf0a6770
	s_mov_b32 s16, 0x3f7d64f0
	;; [unrolled: 1-line block ×14, first 2 shown]
	s_waitcnt lgkmcnt(0)
	s_barrier
	s_mov_b32 s26, s23
	s_mov_b32 s36, 0x3f68dda4
	;; [unrolled: 1-line block ×6, first 2 shown]
	s_waitcnt vmcnt(4)
	v_mov_b32_e32 v108, v19
	v_mul_f32_e32 v25, v23, v17
	v_mul_f32_e32 v61, v22, v17
	s_waitcnt vmcnt(3)
	v_pk_mul_f32 v[42:43], v[28:29], v[12:13] op_sel:[0,1]
	s_waitcnt vmcnt(0)
	v_mov_b32_e32 v124, v7
	v_mov_b32_e32 v46, v15
	v_pk_mul_f32 v[48:49], v[36:37], v[8:9] op_sel:[0,1]
	v_mov_b32_e32 v54, v3
	v_pk_mul_f32 v[56:57], v[32:33], v[4:5] op_sel:[0,1]
	v_fma_f32 v60, v22, v16, -v25
	v_fmac_f32_e32 v61, v23, v16
	v_pk_mul_f32 v[22:23], v[26:27], v[108:109] op_sel_hi:[1,0]
	v_pk_mul_f32 v[124:125], v[118:119], v[124:125] op_sel_hi:[1,0]
	v_mov_b32_e32 v50, v11
	v_pk_fma_f32 v[58:59], v[28:29], v[12:13], v[42:43] op_sel:[0,0,1] op_sel_hi:[1,1,0] neg_lo:[0,0,1] neg_hi:[0,0,1]
	v_pk_fma_f32 v[28:29], v[28:29], v[12:13], v[42:43] op_sel:[0,0,1] op_sel_hi:[1,0,0]
	v_pk_mul_f32 v[42:43], v[34:35], v[46:47] op_sel_hi:[1,0]
	v_pk_fma_f32 v[62:63], v[36:37], v[8:9], v[48:49] op_sel:[0,0,1] op_sel_hi:[1,1,0] neg_lo:[0,0,1] neg_hi:[0,0,1]
	v_pk_fma_f32 v[36:37], v[36:37], v[8:9], v[48:49] op_sel:[0,0,1] op_sel_hi:[1,0,0]
	v_pk_mul_f32 v[48:49], v[30:31], v[54:55] op_sel_hi:[1,0]
	v_pk_fma_f32 v[66:67], v[32:33], v[4:5], v[56:57] op_sel:[0,0,1] op_sel_hi:[1,1,0] neg_lo:[0,0,1] neg_hi:[0,0,1]
	v_pk_fma_f32 v[32:33], v[32:33], v[4:5], v[56:57] op_sel:[0,0,1] op_sel_hi:[1,0,0]
	v_pk_fma_f32 v[110:111], v[26:27], v[18:19], v[22:23] op_sel:[0,0,1] op_sel_hi:[1,1,0] neg_lo:[0,0,1] neg_hi:[0,0,1]
	v_pk_fma_f32 v[22:23], v[26:27], v[18:19], v[22:23] op_sel:[0,0,1] op_sel_hi:[1,0,0]
	;; [unrolled: 2-line block ×3, first 2 shown]
	v_pk_mul_f32 v[46:47], v[38:39], v[50:51] op_sel_hi:[1,0]
	v_pk_fma_f32 v[112:113], v[34:35], v[14:15], v[42:43] op_sel:[0,0,1] op_sel_hi:[1,1,0] neg_lo:[0,0,1] neg_hi:[0,0,1]
	v_pk_fma_f32 v[26:27], v[34:35], v[14:15], v[42:43] op_sel:[0,0,1] op_sel_hi:[1,0,0]
	v_pk_fma_f32 v[116:117], v[30:31], v[2:3], v[48:49] op_sel:[0,0,1] op_sel_hi:[1,1,0] neg_lo:[0,0,1] neg_hi:[0,0,1]
	v_pk_fma_f32 v[30:31], v[30:31], v[2:3], v[48:49] op_sel:[0,0,1] op_sel_hi:[1,0,0]
	v_mov_b32_e32 v67, v33
	v_mov_b32_e32 v111, v23
	;; [unrolled: 1-line block ×3, first 2 shown]
	v_pk_add_f32 v[118:119], v[20:21], v[60:61]
	v_mov_b32_e32 v59, v29
	v_pk_fma_f32 v[114:115], v[38:39], v[10:11], v[46:47] op_sel:[0,0,1] op_sel_hi:[1,1,0] neg_lo:[0,0,1] neg_hi:[0,0,1]
	v_pk_fma_f32 v[28:29], v[38:39], v[10:11], v[46:47] op_sel:[0,0,1] op_sel_hi:[1,0,0]
	v_mov_b32_e32 v113, v27
	v_mov_b32_e32 v117, v31
	v_pk_add_f32 v[26:27], v[110:111], v[66:67]
	v_pk_add_f32 v[32:33], v[110:111], v[66:67] neg_lo:[0,1] neg_hi:[0,1]
	v_pk_add_f32 v[110:111], v[118:119], v[110:111]
	v_mov_b32_e32 v115, v29
	v_pk_add_f32 v[22:23], v[58:59], v[116:117]
	v_pk_add_f32 v[28:29], v[58:59], v[116:117] neg_lo:[0,1] neg_hi:[0,1]
	v_pk_add_f32 v[58:59], v[110:111], v[58:59]
	v_pk_mul_f32 v[52:53], v[40:41], v[0:1] op_sel:[0,1]
	v_mov_b32_e32 v63, v37
	v_pk_add_f32 v[58:59], v[58:59], v[112:113]
	v_pk_fma_f32 v[64:65], v[40:41], v[0:1], v[52:53] op_sel:[0,0,1] op_sel_hi:[1,1,0] neg_lo:[0,0,1] neg_hi:[0,0,1]
	v_pk_fma_f32 v[40:41], v[40:41], v[0:1], v[52:53] op_sel:[0,0,1] op_sel_hi:[1,0,0]
	v_pk_add_f32 v[58:59], v[58:59], v[62:63]
	v_mov_b32_e32 v65, v41
	v_pk_add_f32 v[58:59], v[58:59], v[114:115]
	v_pk_mul_f32 v[38:39], v[28:29], s[20:21] op_sel:[1,0] op_sel_hi:[0,0]
	v_pk_add_f32 v[58:59], v[58:59], v[64:65]
	v_pk_mul_f32 v[36:37], v[32:33], s[16:17] op_sel:[1,0] op_sel_hi:[0,0]
	v_pk_add_f32 v[58:59], v[58:59], v[116:117]
	v_pk_fma_f32 v[48:49], v[22:23], s[14:15], v[38:39] op_sel_hi:[1,0,1]
	v_pk_fma_f32 v[40:41], v[22:23], s[14:15], v[38:39] op_sel_hi:[1,0,1] neg_lo:[0,0,1] neg_hi:[0,0,1]
	v_pk_add_f32 v[38:39], v[62:63], v[114:115] neg_lo:[0,1] neg_hi:[0,1]
	v_pk_add_f32 v[58:59], v[58:59], v[66:67]
	v_pk_fma_f32 v[46:47], v[26:27], s[0:1], v[36:37] op_sel_hi:[1,0,1]
	v_pk_fma_f32 v[42:43], v[26:27], s[0:1], v[36:37] op_sel_hi:[1,0,1] neg_lo:[0,0,1] neg_hi:[0,0,1]
	v_pk_add_f32 v[36:37], v[62:63], v[114:115]
	v_pk_mul_f32 v[118:119], v[38:39], s[24:25] op_sel:[1,0] op_sel_hi:[0,0]
	v_pk_add_f32 v[62:63], v[58:59], v[126:127]
	v_pk_add_f32 v[58:59], v[60:61], v[126:127]
	v_pk_add_f32 v[60:61], v[60:61], v[126:127] neg_lo:[0,1] neg_hi:[0,1]
	v_pk_add_f32 v[30:31], v[112:113], v[64:65]
	v_pk_add_f32 v[34:35], v[112:113], v[64:65] neg_lo:[0,1] neg_hi:[0,1]
	v_pk_fma_f32 v[110:111], v[36:37], s[14:15], v[118:119] op_sel_hi:[1,0,1]
	v_pk_fma_f32 v[118:119], v[36:37], s[14:15], v[118:119] op_sel_hi:[1,0,1] neg_lo:[0,0,1] neg_hi:[0,0,1]
	v_mov_b32_e32 v64, v58
	v_mov_b32_e32 v65, v61
	s_mov_b32 s15, s20
	v_mov_b32_e32 v114, v59
	v_mov_b32_e32 v115, v60
	;; [unrolled: 1-line block ×4, first 2 shown]
	v_pk_mul_f32 v[66:67], v[64:65], s[14:15]
	v_pk_mul_f32 v[116:117], v[114:115], s[14:15]
	v_pk_mul_f32 v[120:121], v[56:57], s[22:23]
	v_mov_b32_e32 v66, v67
	v_mov_b32_e32 v19, v116
	v_pk_fma_f32 v[112:113], v[64:65], s[14:15], v[66:67] neg_lo:[0,0,1] neg_hi:[0,0,1]
	v_mov_b32_e32 v67, v120
	v_pk_fma_f32 v[120:121], v[114:115], s[14:15], v[18:19]
	v_mov_b32_e32 v54, v29
	v_mov_b32_e32 v55, v33
	v_mov_b32_e32 v113, v121
	v_mov_b32_e32 v120, v28
	v_mov_b32_e32 v121, v32
	v_mov_b32_e32 v50, v22
	v_mov_b32_e32 v51, v26
	v_mov_b32_e32 v52, v23
	v_mov_b32_e32 v53, v27
	s_mov_b32 s1, 0x3ed4b147
	v_pk_mul_f32 v[126:127], v[54:55], s[2:3]
	v_pk_mul_f32 v[130:131], v[120:121], s[2:3]
	v_pk_fma_f32 v[128:129], v[50:51], s[0:1], v[126:127] neg_lo:[0,0,1] neg_hi:[0,0,1]
	v_pk_fma_f32 v[132:133], v[52:53], s[0:1], v[130:131]
	v_pk_add_f32 v[112:113], v[20:21], v[112:113]
	v_mov_b32_e32 v134, v129
	v_mov_b32_e32 v135, v133
	;; [unrolled: 1-line block ×4, first 2 shown]
	v_pk_add_f32 v[112:113], v[134:135], v[112:113]
	v_mov_b32_e32 v129, v132
	v_mov_b32_e32 v132, v39
	;; [unrolled: 1-line block ×3, first 2 shown]
	v_pk_mul_f32 v[124:125], v[122:123], s[18:19]
	v_pk_add_f32 v[112:113], v[128:129], v[112:113]
	v_mov_b32_e32 v128, v36
	v_mov_b32_e32 v129, v30
	v_pk_mul_f32 v[134:135], v[132:133], s[18:19]
	v_mov_b32_e32 v25, v124
	v_pk_fma_f32 v[136:137], v[128:129], s[22:23], v[134:135] neg_lo:[0,0,1] neg_hi:[0,0,1]
	v_pk_fma_f32 v[138:139], v[56:57], s[22:23], v[124:125]
	v_pk_add_f32 v[116:117], v[24:25], v[66:67]
	v_mov_b32_e32 v138, v137
	v_mov_b32_e32 v116, v136
	v_pk_add_f32 v[112:113], v[138:139], v[112:113]
	v_mul_u32_u24_e32 v25, 0xf2, v69
	v_pk_add_f32 v[112:113], v[116:117], v[112:113]
	v_add_lshl_u32 v145, v25, v109, 3
	s_mov_b32 s28, s1
	v_pk_mul_f32 v[116:117], v[60:61], s[34:35] op_sel:[1,0] op_sel_hi:[0,0]
	ds_write2_b64 v145, v[62:63], v[112:113] offset1:22
	v_pk_mul_f32 v[62:63], v[32:33], s[30:31] op_sel:[1,0] op_sel_hi:[0,0]
	v_pk_fma_f32 v[136:137], v[58:59], s[28:29], v[116:117] op_sel_hi:[1,0,1]
	v_pk_fma_f32 v[116:117], v[58:59], s[28:29], v[116:117] op_sel_hi:[1,0,1] neg_lo:[0,0,1] neg_hi:[0,0,1]
	v_pk_fma_f32 v[112:113], v[26:27], s[26:27], v[62:63] op_sel_hi:[1,0,1]
	v_pk_fma_f32 v[62:63], v[26:27], s[26:27], v[62:63] op_sel_hi:[1,0,1] neg_lo:[0,0,1] neg_hi:[0,0,1]
	v_mov_b32_e32 v67, v117
	v_mov_b32_e32 v117, v137
	;; [unrolled: 1-line block ×4, first 2 shown]
	v_pk_add_f32 v[116:117], v[20:21], v[116:117]
	s_mov_b32 s34, s17
	v_pk_add_f32 v[62:63], v[62:63], v[116:117]
	v_pk_mul_f32 v[116:117], v[28:29], s[38:39] op_sel:[1,0] op_sel_hi:[0,0]
	v_pk_fma_f32 v[148:149], v[22:23], s[34:35], v[116:117] op_sel_hi:[1,0,1]
	v_pk_fma_f32 v[116:117], v[22:23], s[34:35], v[116:117] op_sel_hi:[1,0,1] neg_lo:[0,0,1] neg_hi:[0,0,1]
	s_mov_b32 s38, s23
	v_mov_b32_e32 v113, v117
	v_mov_b32_e32 v117, v149
	v_pk_add_f32 v[62:63], v[116:117], v[62:63]
	v_pk_mul_f32 v[116:117], v[34:35], s[16:17] op_sel:[1,0] op_sel_hi:[0,0]
	v_pk_fma_f32 v[150:151], v[30:31], s[0:1], v[116:117] op_sel_hi:[1,0,1]
	v_pk_fma_f32 v[116:117], v[30:31], s[0:1], v[116:117] op_sel_hi:[1,0,1] neg_lo:[0,0,1] neg_hi:[0,0,1]
	s_mov_b32 s39, s14
	v_mov_b32_e32 v149, v117
	v_mov_b32_e32 v117, v151
	v_pk_add_f32 v[62:63], v[116:117], v[62:63]
	v_mov_b32_e32 v117, v119
	v_mov_b32_e32 v119, v111
	v_pk_add_f32 v[62:63], v[118:119], v[62:63]
	v_pk_mul_f32 v[118:119], v[122:123], s[40:41]
	v_pk_mul_f32 v[122:123], v[56:57], s[38:39]
	v_pk_fma_f32 v[126:127], v[50:51], s[0:1], v[126:127]
	v_pk_fma_f32 v[130:131], v[52:53], s[0:1], v[130:131] neg_lo:[0,0,1] neg_hi:[0,0,1]
	s_mov_b32 s16, s1
	s_mov_b32 s1, s2
	v_mov_b32_e32 v25, v122
	v_mov_b32_e32 v69, v118
	v_pk_mul_f32 v[152:153], v[64:65], s[0:1]
	v_pk_mul_f32 v[154:155], v[114:115], s[0:1]
	v_pk_add_f32 v[122:123], v[68:69], v[24:25]
	v_mov_b32_e32 v152, v153
	v_mov_b32_e32 v25, v154
	v_pk_fma_f32 v[154:155], v[64:65], s[0:1], v[152:153] neg_lo:[0,0,1] neg_hi:[0,0,1]
	v_pk_fma_f32 v[156:157], v[114:115], s[0:1], v[24:25]
	v_pk_mul_f32 v[54:55], v[54:55], s[36:37]
	v_pk_mul_f32 v[120:121], v[120:121], s[36:37]
	v_mov_b32_e32 v155, v157
	v_pk_fma_f32 v[156:157], v[50:51], s[16:17], v[54:55] neg_lo:[0,0,1] neg_hi:[0,0,1]
	v_pk_fma_f32 v[158:159], v[52:53], s[16:17], v[120:121]
	v_pk_add_f32 v[154:155], v[20:21], v[154:155]
	v_mov_b32_e32 v160, v157
	v_mov_b32_e32 v161, v159
	v_pk_add_f32 v[154:155], v[160:161], v[154:155]
	v_mov_b32_e32 v157, v158
	v_pk_mul_f32 v[132:133], v[132:133], s[40:41]
	v_pk_add_f32 v[154:155], v[156:157], v[154:155]
	v_pk_fma_f32 v[156:157], v[128:129], s[38:39], v[132:133] neg_lo:[0,0,1] neg_hi:[0,0,1]
	v_pk_fma_f32 v[158:159], v[56:57], s[38:39], v[118:119]
	v_mov_b32_e32 v122, v156
	v_mov_b32_e32 v158, v157
	v_pk_add_f32 v[154:155], v[158:159], v[154:155]
	v_pk_fma_f32 v[50:51], v[50:51], s[16:17], v[54:55]
	v_pk_add_f32 v[122:123], v[122:123], v[154:155]
	ds_write2_b64 v145, v[62:63], v[122:123] offset0:44 offset1:66
	v_pk_fma_f32 v[54:55], v[52:53], s[16:17], v[120:121] neg_lo:[0,0,1] neg_hi:[0,0,1]
	v_pk_fma_f32 v[120:121], v[56:57], s[22:23], v[124:125] neg_lo:[0,0,1] neg_hi:[0,0,1]
	;; [unrolled: 1-line block ×3, first 2 shown]
	v_pk_fma_f32 v[118:119], v[64:65], s[14:15], v[66:67]
	v_pk_fma_f32 v[122:123], v[64:65], s[0:1], v[152:153]
	v_pk_mul_f32 v[64:65], v[60:61], s[30:31] op_sel:[1,0] op_sel_hi:[0,0]
	v_mov_b32_e32 v116, v110
	v_pk_fma_f32 v[62:63], v[128:129], s[22:23], v[134:135]
	v_pk_fma_f32 v[110:111], v[128:129], s[38:39], v[132:133]
	v_pk_fma_f32 v[128:129], v[58:59], s[26:27], v[64:65] op_sel_hi:[1,0,1]
	v_pk_fma_f32 v[64:65], v[58:59], s[26:27], v[64:65] op_sel_hi:[1,0,1] neg_lo:[0,0,1] neg_hi:[0,0,1]
	v_mov_b32_e32 v132, v128
	v_mov_b32_e32 v133, v65
	;; [unrolled: 1-line block ×6, first 2 shown]
	v_pk_add_f32 v[132:133], v[20:21], v[132:133]
	v_pk_add_f32 v[66:67], v[20:21], v[66:67]
	v_mov_b32_e32 v43, v47
	v_pk_mul_f32 v[46:47], v[38:39], s[36:37] op_sel:[1,0] op_sel_hi:[0,0]
	v_mov_b32_e32 v112, v148
	v_pk_add_f32 v[52:53], v[52:53], v[132:133]
	v_mov_b32_e32 v132, v48
	v_mov_b32_e32 v133, v41
	v_pk_add_f32 v[66:67], v[138:139], v[66:67]
	v_mov_b32_e32 v41, v49
	v_pk_fma_f32 v[48:49], v[36:37], s[28:29], v[46:47] op_sel_hi:[1,0,1]
	v_pk_fma_f32 v[46:47], v[36:37], s[28:29], v[46:47] op_sel_hi:[1,0,1] neg_lo:[0,0,1] neg_hi:[0,0,1]
	v_mov_b32_e32 v65, v129
	v_pk_add_f32 v[52:53], v[132:133], v[52:53]
	v_pk_mul_f32 v[132:133], v[34:35], s[18:19] op_sel:[1,0] op_sel_hi:[0,0]
	v_pk_add_f32 v[66:67], v[112:113], v[66:67]
	v_mov_b32_e32 v112, v48
	v_mov_b32_e32 v113, v47
	;; [unrolled: 1-line block ×3, first 2 shown]
	v_pk_add_f32 v[48:49], v[20:21], v[64:65]
	v_pk_mul_f32 v[34:35], v[34:35], s[36:37] op_sel:[1,0] op_sel_hi:[0,0]
	v_pk_fma_f32 v[134:135], v[30:31], s[34:35], v[132:133] op_sel_hi:[1,0,1]
	v_pk_fma_f32 v[132:133], v[30:31], s[34:35], v[132:133] op_sel_hi:[1,0,1] neg_lo:[0,0,1] neg_hi:[0,0,1]
	v_pk_add_f32 v[42:43], v[42:43], v[48:49]
	v_pk_fma_f32 v[48:49], v[30:31], s[28:29], v[34:35] op_sel_hi:[1,0,1] neg_lo:[0,0,1] neg_hi:[0,0,1]
	v_pk_fma_f32 v[30:31], v[30:31], s[28:29], v[34:35] op_sel_hi:[1,0,1]
	v_pk_mul_f32 v[34:35], v[38:39], s[2:3] op_sel:[1,0] op_sel_hi:[0,0]
	v_pk_fma_f32 v[38:39], v[36:37], s[0:1], v[34:35] op_sel_hi:[1,0,1] neg_lo:[0,0,1] neg_hi:[0,0,1]
	v_pk_fma_f32 v[34:35], v[36:37], s[0:1], v[34:35] op_sel_hi:[1,0,1]
	v_pk_mul_f32 v[36:37], v[60:61], s[18:19] op_sel:[1,0] op_sel_hi:[0,0]
	v_mov_b32_e32 v151, v133
	v_mov_b32_e32 v133, v135
	v_pk_add_f32 v[40:41], v[40:41], v[42:43]
	v_pk_mul_f32 v[32:33], v[32:33], s[24:25] op_sel:[1,0] op_sel_hi:[0,0]
	v_pk_fma_f32 v[60:61], v[58:59], s[34:35], v[36:37] op_sel_hi:[1,0,1] neg_lo:[0,0,1] neg_hi:[0,0,1]
	v_pk_fma_f32 v[36:37], v[58:59], s[34:35], v[36:37] op_sel_hi:[1,0,1]
	v_pk_add_f32 v[40:41], v[132:133], v[40:41]
	v_pk_fma_f32 v[42:43], v[26:27], s[14:15], v[32:33] op_sel_hi:[1,0,1] neg_lo:[0,0,1] neg_hi:[0,0,1]
	v_pk_fma_f32 v[26:27], v[26:27], s[14:15], v[32:33] op_sel_hi:[1,0,1]
	v_pk_mul_f32 v[28:29], v[28:29], s[30:31] op_sel:[1,0] op_sel_hi:[0,0]
	v_mov_b32_e32 v58, v60
	v_mov_b32_e32 v59, v37
	v_pk_add_f32 v[40:41], v[46:47], v[40:41]
	v_mov_b32_e32 v32, v42
	v_mov_b32_e32 v33, v27
	v_pk_fma_f32 v[46:47], v[22:23], s[26:27], v[28:29] op_sel_hi:[1,0,1] neg_lo:[0,0,1] neg_hi:[0,0,1]
	v_pk_fma_f32 v[22:23], v[22:23], s[26:27], v[28:29] op_sel_hi:[1,0,1]
	v_pk_add_f32 v[58:59], v[20:21], v[58:59]
	v_mov_b32_e32 v28, v46
	v_mov_b32_e32 v29, v23
	v_pk_add_f32 v[32:33], v[32:33], v[58:59]
	v_mov_b32_e32 v58, v48
	v_mov_b32_e32 v59, v31
	;; [unrolled: 3-line block ×3, first 2 shown]
	v_pk_add_f32 v[28:29], v[58:59], v[28:29]
	v_mov_b32_e32 v37, v61
	v_pk_add_f32 v[28:29], v[32:33], v[28:29]
	ds_write2_b64 v145, v[40:41], v[28:29] offset0:88 offset1:110
	v_mov_b32_e32 v27, v43
	v_pk_add_f32 v[28:29], v[20:21], v[36:37]
	v_mov_b32_e32 v23, v47
	v_pk_add_f32 v[26:27], v[26:27], v[28:29]
	v_mov_b32_e32 v148, v150
	v_mov_b32_e32 v150, v134
	;; [unrolled: 1-line block ×3, first 2 shown]
	v_pk_add_f32 v[22:23], v[22:23], v[26:27]
	v_pk_fma_f32 v[124:125], v[114:115], s[14:15], v[18:19] neg_lo:[1,0,0] neg_hi:[1,0,0]
	v_pk_fma_f32 v[114:115], v[114:115], s[0:1], v[24:25] neg_lo:[1,0,0] neg_hi:[1,0,0]
	v_pk_add_f32 v[52:53], v[150:151], v[52:53]
	v_mov_b32_e32 v35, v39
	v_pk_add_f32 v[22:23], v[30:31], v[22:23]
	v_pk_add_f32 v[52:53], v[112:113], v[52:53]
	;; [unrolled: 1-line block ×3, first 2 shown]
	v_mov_b32_e32 v123, v115
	ds_write2_b64 v145, v[22:23], v[52:53] offset0:132 offset1:154
	v_pk_add_f32 v[22:23], v[20:21], v[122:123]
	v_mov_b32_e32 v26, v51
	v_mov_b32_e32 v27, v55
	v_pk_add_f32 v[22:23], v[26:27], v[22:23]
	v_mov_b32_e32 v51, v54
	v_pk_add_f32 v[22:23], v[50:51], v[22:23]
	v_mov_b32_e32 v26, v111
	v_mov_b32_e32 v27, v57
	;; [unrolled: 1-line block ×3, first 2 shown]
	v_pk_add_f32 v[22:23], v[26:27], v[22:23]
	v_pk_add_f32 v[20:21], v[20:21], v[118:119]
	v_mov_b32_e32 v26, v127
	v_mov_b32_e32 v27, v131
	v_pk_add_f32 v[20:21], v[26:27], v[20:21]
	v_mov_b32_e32 v127, v130
	v_pk_add_f32 v[20:21], v[126:127], v[20:21]
	v_mov_b32_e32 v26, v63
	v_mov_b32_e32 v27, v121
	v_pk_add_f32 v[66:67], v[148:149], v[66:67]
	v_mov_b32_e32 v111, v56
	v_pk_add_f32 v[20:21], v[26:27], v[20:21]
	;; [unrolled: 2-line block ×3, first 2 shown]
	v_pk_add_f32 v[22:23], v[110:111], v[22:23]
	v_pk_add_f32 v[54:55], v[62:63], v[20:21]
	v_add_u32_e32 v19, 0xf00, v68
	ds_write2_b64 v145, v[22:23], v[64:65] offset0:176 offset1:198
	ds_write_b64 v145, v[54:55] offset:1760
	s_waitcnt lgkmcnt(0)
	s_barrier
	ds_read2_b64 v[56:59], v19 offset0:4 offset1:246
	v_add_u32_e32 v19, 0x1e00, v68
	ds_read2_b64 v[48:51], v68 offset1:242
	ds_read2_b64 v[60:63], v19 offset0:8 offset1:250
	ds_read_b64 v[112:113], v68 offset:11616
	s_movk_i32 s0, 0x58
	s_movk_i32 s2, 0x57
	v_cmp_gt_u16_e64 s[0:1], s0, v70
	v_cmp_lt_u16_e64 s[2:3], s2, v70
                                        ; implicit-def: $vgpr111
                                        ; implicit-def: $vgpr114_vgpr115
	s_and_saveexec_b64 s[14:15], s[2:3]
	s_xor_b64 s[14:15], exec, s[14:15]
; %bb.6:
	v_mov_b32_e32 v114, v22
	v_mov_b32_e32 v115, v44
	;; [unrolled: 1-line block ×4, first 2 shown]
; %bb.7:
	s_or_saveexec_b64 s[14:15], s[14:15]
                                        ; implicit-def: $vgpr66
	s_xor_b64 exec, exec, s[14:15]
	s_cbranch_execz .LBB0_9
; %bb.8:
	v_add_u32_e32 v19, 0x480, v68
	ds_read2_b64 v[52:55], v19 offset0:10 offset1:252
	v_add_u32_e32 v19, 0x2300, v68
	ds_read2_b64 v[44:47], v19 offset0:2 offset1:244
	v_add_u32_e32 v19, 0x13c0, v68
	ds_read_b64 v[110:111], v68 offset:12848
	ds_read2_b64 v[64:67], v19 offset0:6 offset1:248
	s_waitcnt lgkmcnt(3)
	v_mov_b32_e32 v114, v54
	s_waitcnt lgkmcnt(2)
	v_mov_b32_e32 v115, v44
	v_mov_b32_e32 v44, v55
	s_waitcnt lgkmcnt(1)
	v_mov_b32_e32 v54, v111
	s_waitcnt lgkmcnt(0)
	v_mov_b32_e32 v55, v67
	v_mov_b32_e32 v111, v66
	;; [unrolled: 1-line block ×3, first 2 shown]
.LBB0_9:
	s_or_b64 exec, exec, s[14:15]
	v_add_u32_e32 v19, 0xffffffa8, v70
	v_cndmask_b32_e64 v19, v19, v24, s[0:1]
	v_mul_hi_i32_i24_e32 v23, 48, v19
	v_mul_i32_i24_e32 v22, 48, v19
	v_mad_u64_u32 v[20:21], s[14:15], v70, 48, s[6:7]
	v_lshl_add_u64 v[116:117], s[6:7], 0, v[22:23]
	global_load_dwordx4 v[36:39], v[20:21], off offset:1864
	global_load_dwordx4 v[32:35], v[20:21], off offset:1848
	;; [unrolled: 1-line block ×3, first 2 shown]
	s_nop 0
	global_load_dwordx4 v[20:23], v[116:117], off offset:1848
	global_load_dwordx4 v[28:31], v[116:117], off offset:1864
	;; [unrolled: 1-line block ×3, first 2 shown]
	v_mov_b32_e32 v118, v114
	v_mov_b32_e32 v119, v111
	;; [unrolled: 1-line block ×4, first 2 shown]
	s_mov_b32 s14, 0x3eae86e6
	s_mov_b32 s15, 0xbf08b237
	;; [unrolled: 1-line block ×12, first 2 shown]
	s_waitcnt vmcnt(5) lgkmcnt(1)
	v_mul_f32_e32 v125, v61, v38
	s_waitcnt vmcnt(2)
	v_mov_b32_e32 v134, v21
	s_waitcnt vmcnt(1)
	v_mov_b32_e32 v135, v29
	;; [unrolled: 2-line block ×3, first 2 shown]
	v_mov_b32_e32 v139, v29
	v_mul_f32_e32 v47, v63, v41
	v_mov_b32_e32 v132, v20
	v_mov_b32_e32 v133, v28
	;; [unrolled: 1-line block ×4, first 2 shown]
	v_pk_mul_f32 v[66:67], v[66:67], v[24:25] op_sel_hi:[0,1]
	v_pk_mul_f32 v[118:119], v[118:119], v[134:135]
	v_pk_mul_f32 v[134:135], v[54:55], v[138:139]
	v_fma_f32 v122, v62, v40, -v47
	v_mov_b32_e32 v130, v21
	v_mov_b32_e32 v131, v31
	;; [unrolled: 1-line block ×4, first 2 shown]
	v_pk_mul_f32 v[152:153], v[64:65], v[22:23] op_sel:[1,0]
	v_pk_fma_f32 v[138:139], v[46:47], v[24:25], v[66:67] op_sel:[0,0,1] op_sel_hi:[1,1,0] neg_lo:[0,0,1] neg_hi:[0,0,1]
	v_pk_fma_f32 v[46:47], v[46:47], v[24:25], v[66:67] op_sel:[0,0,1] op_sel_hi:[0,1,0]
	v_pk_fma_f32 v[116:117], v[116:117], v[132:133], v[118:119]
	v_pk_fma_f32 v[118:119], v[110:111], v[136:137], v[134:135] neg_lo:[0,0,1] neg_hi:[0,0,1]
	v_mov_b32_e32 v111, v115
	v_mov_b32_e32 v128, v20
	v_mov_b32_e32 v129, v30
	v_mov_b32_e32 v148, v26
	v_mov_b32_e32 v149, v30
	v_pk_mul_f32 v[130:131], v[44:45], v[130:131]
	v_mov_b32_e32 v55, v45
	v_pk_fma_f32 v[44:45], v[64:65], v[22:23], v[152:153] op_sel:[0,0,1] op_sel_hi:[1,1,0] neg_lo:[0,0,1] neg_hi:[0,0,1]
	v_pk_fma_f32 v[64:65], v[64:65], v[22:23], v[152:153] op_sel:[0,0,1] op_sel_hi:[0,1,0]
	v_mov_b32_e32 v139, v47
	v_pk_mul_f32 v[46:47], v[110:111], v[150:151]
	v_pk_fma_f32 v[66:67], v[114:115], v[128:129], v[130:131] neg_lo:[0,0,1] neg_hi:[0,0,1]
	v_mov_b32_e32 v45, v65
	v_pk_fma_f32 v[46:47], v[54:55], v[148:149], v[46:47]
	v_mul_f32_e32 v19, v57, v35
	v_pk_add_f32 v[64:65], v[66:67], v[118:119] neg_lo:[0,1] neg_hi:[0,1]
	v_mov_b32_e32 v110, v116
	v_pk_add_f32 v[114:115], v[44:45], v[138:139] neg_lo:[0,1] neg_hi:[0,1]
	v_pk_add_f32 v[44:45], v[44:45], v[138:139]
	v_pk_add_f32 v[128:129], v[116:117], v[46:47]
	v_mov_b32_e32 v111, v47
	v_mov_b32_e32 v47, v117
	v_fma_f32 v120, v56, v34, -v19
	v_pk_add_f32 v[66:67], v[118:119], v[66:67]
	v_mov_b32_e32 v118, v45
	v_mov_b32_e32 v119, v64
	v_pk_add_f32 v[46:47], v[110:111], v[46:47] neg_lo:[0,1] neg_hi:[0,1]
	v_mov_b32_e32 v19, v128
	v_mov_b32_e32 v54, v65
	v_mov_b32_e32 v55, v114
	v_pk_add_f32 v[110:111], v[118:119], v[128:129] neg_lo:[0,1] neg_hi:[0,1]
	v_pk_add_f32 v[134:135], v[44:45], v[18:19]
	v_mov_b32_e32 v118, v46
	v_pk_add_f32 v[54:55], v[64:65], v[54:55] neg_lo:[0,1] neg_hi:[0,1]
	v_sub_f32_e32 v64, v128, v129
	v_pk_add_f32 v[134:135], v[134:135], v[128:129]
	v_mov_b32_e32 v128, v67
	v_pk_add_f32 v[136:137], v[114:115], v[118:119] op_sel:[1,0] op_sel_hi:[0,1] neg_lo:[0,1] neg_hi:[0,1]
	v_pk_mul_f32 v[130:131], v[54:55], s[14:15]
	v_pk_add_f32 v[128:129], v[128:129], v[44:45] neg_lo:[0,1] neg_hi:[0,1]
	v_pk_mul_f32 v[152:153], v[136:137], s[18:19] op_sel_hi:[1,0]
	v_pk_mul_f32 v[148:149], v[128:129], s[16:17] op_sel_hi:[1,0]
	v_xor_b32_e32 v154, 0x80000000, v153
	v_mov_b32_e32 v155, v130
	v_mul_f32_e32 v132, 0xbf4a47b2, v64
	v_fmamk_f32 v151, v64, 0x3f4a47b2, v149
	v_pk_fma_f32 v[156:157], v[54:55], s[14:15], v[154:155] neg_lo:[1,0,0] neg_hi:[1,0,0]
	v_pk_fma_f32 v[54:55], v[54:55], s[14:15], v[154:155]
	v_mov_b32_e32 v64, v47
	v_mov_b32_e32 v157, v55
	v_pk_add_f32 v[54:55], v[64:65], v[114:115] op_sel:[0,1] op_sel_hi:[1,0]
	v_pk_add_f32 v[64:65], v[44:45], v[66:67]
	v_mov_b32_e32 v114, v47
	v_mov_b32_e32 v19, v64
	v_sub_f32_e32 v69, v66, v67
	v_mov_b32_e32 v111, v135
	v_pk_add_f32 v[46:47], v[46:47], v[114:115] neg_lo:[0,1] neg_hi:[0,1]
	v_pk_add_f32 v[44:45], v[44:45], v[66:67] neg_lo:[0,1] neg_hi:[0,1]
	v_pk_add_f32 v[66:67], v[18:19], v[66:67]
	v_pk_mul_f32 v[138:139], v[110:111], s[6:7]
	v_mov_b32_e32 v66, v44
	v_mov_b32_e32 v134, v67
	v_pk_mul_f32 v[44:45], v[44:45], s[6:7]
	v_pk_mul_f32 v[114:115], v[46:47], s[14:15]
	v_pk_add_f32 v[52:53], v[52:53], v[134:135]
	v_mov_b32_e32 v45, v138
	v_mov_b32_e32 v130, v115
	;; [unrolled: 1-line block ×3, first 2 shown]
	v_pk_fma_f32 v[44:45], v[128:129], s[16:17], v[44:45] op_sel_hi:[1,0,1] neg_lo:[1,0,0] neg_hi:[1,0,0]
	v_pk_fma_f32 v[128:129], v[136:137], s[18:19], v[130:131] op_sel_hi:[1,0,1] neg_lo:[0,0,1] neg_hi:[0,0,1]
	v_pk_mul_f32 v[130:131], v[50:51], v[32:33] op_sel_hi:[1,0]
	v_mul_f32_e32 v127, v60, v39
	v_pk_fma_f32 v[110:111], v[110:111], s[6:7], v[132:133] neg_lo:[1,0,0] neg_hi:[1,0,0]
	v_pk_fma_f32 v[132:133], v[50:51], v[32:33], v[130:131] op_sel:[0,1,1] op_sel_hi:[1,1,0]
	v_pk_fma_f32 v[50:51], v[50:51], v[32:33], v[130:131] op_sel:[0,1,1] op_sel_hi:[1,1,0] neg_lo:[1,0,0] neg_hi:[1,0,0]
	v_mov_b32_e32 v130, v57
	v_mov_b32_e32 v131, v60
	;; [unrolled: 1-line block ×7, first 2 shown]
	v_pk_mul_f32 v[56:57], v[56:57], v[60:61]
	v_mul_f32_e32 v121, v59, v36
	v_mul_f32_e32 v123, v58, v37
	v_pk_fma_f32 v[60:61], v[130:131], v[34:35], v[56:57]
	v_pk_fma_f32 v[56:57], v[130:131], v[134:135], v[56:57] neg_lo:[0,0,1] neg_hi:[0,0,1]
	v_mov_b32_e32 v130, v63
	v_mov_b32_e32 v131, v58
	;; [unrolled: 1-line block ×7, first 2 shown]
	v_pk_mul_f32 v[58:59], v[62:63], v[58:59]
	v_mul_f32_e32 v116, 0xbf4a47b2, v69
	v_mov_b32_e32 v117, v52
	v_mov_b32_e32 v19, v114
	v_pk_fma_f32 v[62:63], v[130:131], v[40:41], v[58:59]
	v_pk_fma_f32 v[58:59], v[130:131], v[134:135], v[58:59] neg_lo:[0,0,1] neg_hi:[0,0,1]
	s_waitcnt lgkmcnt(0)
	v_pk_mul_f32 v[130:131], v[112:113], v[42:43] op_sel_hi:[1,0]
	v_mov_b32_e32 v50, v43
	v_fmac_f32_e32 v148, 0x3f4a47b2, v69
	v_pk_fma_f32 v[66:67], v[66:67], s[6:7], v[116:117] neg_lo:[1,0,0] neg_hi:[1,0,0]
	v_pk_fma_f32 v[114:115], v[46:47], s[14:15], v[152:153] neg_lo:[1,0,1] neg_hi:[1,0,1]
	v_pk_fma_f32 v[46:47], v[46:47], s[14:15], v[18:19]
	v_pk_fma_f32 v[134:135], v[112:113], v[50:51], v[130:131] op_sel:[0,0,1] op_sel_hi:[1,0,0]
	v_pk_fma_f32 v[112:113], v[112:113], v[50:51], v[130:131] op_sel:[0,0,1] op_sel_hi:[1,0,0] neg_lo:[1,0,0] neg_hi:[1,0,0]
	v_pk_add_f32 v[118:119], v[54:55], v[118:119]
	v_mov_b32_e32 v115, v47
	v_mov_b32_e32 v46, v67
	;; [unrolled: 1-line block ×9, first 2 shown]
	v_pk_add_f32 v[116:117], v[66:67], v[46:47]
	v_pk_fma_f32 v[46:47], v[118:119], s[20:21], v[128:129] op_sel_hi:[1,0,1]
	v_pk_add_f32 v[128:129], v[120:121], v[122:123]
	v_pk_add_f32 v[130:131], v[132:133], v[134:135]
	v_pk_add_f32 v[132:133], v[132:133], v[134:135] neg_lo:[0,1] neg_hi:[0,1]
	v_pk_add_f32 v[134:135], v[60:61], v[62:63]
	v_pk_add_f32 v[50:51], v[124:125], v[126:127]
	v_pk_add_f32 v[60:61], v[60:61], v[62:63] neg_lo:[0,1] neg_hi:[0,1]
	v_mov_b32_e32 v62, v51
	v_mov_b32_e32 v63, v120
	;; [unrolled: 1-line block ×8, first 2 shown]
	v_pk_add_f32 v[62:63], v[62:63], v[112:113] neg_lo:[0,1] neg_hi:[0,1]
	v_pk_add_f32 v[126:127], v[128:129], v[50:51]
	v_pk_add_f32 v[56:57], v[58:59], v[56:57]
	v_mov_b32_e32 v122, v62
	v_mov_b32_e32 v123, v133
	v_mov_b32_e32 v58, v56
	v_mov_b32_e32 v59, v130
	v_mov_b32_e32 v129, v127
	v_mov_b32_e32 v112, v132
	v_mov_b32_e32 v113, v61
	v_pk_add_f32 v[122:123], v[122:123], v[60:61] neg_lo:[0,1] neg_hi:[0,1]
	v_pk_add_f32 v[58:59], v[58:59], v[128:129] neg_lo:[0,1] neg_hi:[0,1]
	v_mov_b32_e32 v51, v127
	v_mov_b32_e32 v136, v56
	;; [unrolled: 1-line block ×3, first 2 shown]
	v_pk_add_f32 v[56:57], v[126:127], v[56:57]
	v_pk_add_f32 v[112:113], v[112:113], v[62:63] neg_lo:[0,1] neg_hi:[0,1]
	v_pk_mul_f32 v[122:123], v[122:123], s[22:23]
	v_pk_add_f32 v[124:125], v[60:61], v[62:63]
	v_pk_add_f32 v[136:137], v[50:51], v[136:137] neg_lo:[0,1] neg_hi:[0,1]
	v_pk_add_f32 v[48:49], v[48:49], v[56:57]
	s_mov_b32 s22, 0xbf955555
	v_pk_mul_f32 v[58:59], v[58:59], s[16:17]
	v_pk_mul_f32 v[120:121], v[112:113], s[14:15]
	v_pk_add_f32 v[124:125], v[124:125], v[132:133]
	v_pk_mul_f32 v[126:127], v[136:137], s[24:25]
	v_pk_fma_f32 v[56:57], v[56:57], s[22:23], v[48:49] op_sel_hi:[1,0,1]
	v_pk_fma_f32 v[136:137], v[136:137], s[24:25], v[58:59]
	v_pk_fma_f32 v[112:113], v[112:113], s[14:15], v[122:123]
	v_pk_add_f32 v[136:137], v[136:137], v[56:57]
	v_pk_fma_f32 v[112:113], v[124:125], s[20:21], v[112:113] op_sel_hi:[1,0,1]
	v_mov_b32_e32 v61, v63
	v_pk_add_f32 v[138:139], v[136:137], v[112:113]
	v_pk_add_f32 v[112:113], v[136:137], v[112:113] neg_lo:[0,1] neg_hi:[0,1]
	v_mov_b32_e32 v136, v138
	v_mov_b32_e32 v137, v113
	;; [unrolled: 1-line block ×4, first 2 shown]
	ds_write2_b64 v68, v[48:49], v[136:137] offset1:242
	v_pk_add_f32 v[48:49], v[60:61], v[132:133] neg_lo:[0,1] neg_hi:[0,1]
	v_pk_add_f32 v[50:51], v[128:129], v[50:51] neg_lo:[0,1] neg_hi:[0,1]
	v_mov_b32_e32 v60, v126
	v_mov_b32_e32 v61, v59
	;; [unrolled: 1-line block ×7, first 2 shown]
	v_pk_fma_f32 v[60:61], v[50:51], s[6:7], v[60:61] op_sel_hi:[1,0,1] neg_lo:[1,0,1] neg_hi:[1,0,1]
	v_pk_fma_f32 v[62:63], v[48:49], s[18:19], v[62:63] op_sel_hi:[1,0,1] neg_lo:[1,0,1] neg_hi:[1,0,1]
	;; [unrolled: 1-line block ×4, first 2 shown]
	v_pk_add_f32 v[64:65], v[110:111], v[150:151]
	v_mov_b32_e32 v110, v67
	v_pk_add_f32 v[60:61], v[60:61], v[56:57]
	v_pk_fma_f32 v[62:63], v[124:125], s[20:21], v[62:63] op_sel_hi:[1,0,1]
	v_pk_add_f32 v[50:51], v[50:51], v[56:57]
	v_pk_fma_f32 v[48:49], v[124:125], s[20:21], v[48:49] op_sel_hi:[1,0,1]
	v_pk_mul_f32 v[154:155], v[118:119], s[20:21] op_sel_hi:[1,0]
	v_pk_add_f32 v[44:45], v[44:45], v[110:111]
	v_pk_add_f32 v[128:129], v[60:61], v[62:63]
	v_pk_add_f32 v[60:61], v[60:61], v[62:63] neg_lo:[0,1] neg_hi:[0,1]
	v_pk_add_f32 v[56:57], v[50:51], v[48:49] neg_lo:[0,1] neg_hi:[0,1]
	v_pk_add_f32 v[48:49], v[50:51], v[48:49]
	v_pk_add_f32 v[54:55], v[154:155], v[156:157] op_sel:[1,0]
	v_pk_add_f32 v[118:119], v[154:155], v[114:115] op_sel_hi:[0,1]
	v_pk_add_f32 v[114:115], v[44:45], v[46:47]
	v_pk_add_f32 v[66:67], v[44:45], v[46:47] neg_lo:[0,1] neg_hi:[0,1]
	v_mov_b32_e32 v62, v128
	v_mov_b32_e32 v63, v61
	v_mov_b32_e32 v50, v56
	v_mov_b32_e32 v51, v49
	v_add_u32_e32 v19, 0xf00, v68
	v_mov_b32_e32 v44, v114
	v_mov_b32_e32 v45, v67
	v_pk_add_f32 v[46:47], v[116:117], v[118:119] neg_lo:[0,1] neg_hi:[0,1]
	v_pk_add_f32 v[110:111], v[54:55], v[64:65]
	ds_write2_b64 v19, v[62:63], v[50:51] offset0:4 offset1:246
	v_mov_b32_e32 v49, v57
	v_mov_b32_e32 v61, v129
	v_add_u32_e32 v19, 0x1e00, v68
	v_mov_b32_e32 v113, v139
	ds_write2_b64 v19, v[48:49], v[60:61] offset0:8 offset1:250
	ds_write_b64 v68, v[112:113] offset:11616
	s_and_saveexec_b64 s[6:7], s[0:1]
	s_cbranch_execz .LBB0_11
; %bb.10:
	v_mov_b32_e32 v48, v119
	v_mov_b32_e32 v50, v117
	v_pk_add_f32 v[48:49], v[48:49], v[50:51]
	v_pk_add_f32 v[50:51], v[64:65], v[54:55] neg_lo:[0,1] neg_hi:[0,1]
	v_mov_b32_e32 v67, v115
	v_mov_b32_e32 v49, v51
	v_add_u32_e32 v50, 0x480, v68
	ds_write2_b64 v50, v[52:53], v[48:49] offset0:10 offset1:252
	v_mov_b32_e32 v49, v64
	v_mov_b32_e32 v50, v116
	;; [unrolled: 1-line block ×3, first 2 shown]
	v_pk_add_f32 v[52:53], v[118:119], v[116:117]
	v_pk_add_f32 v[48:49], v[48:49], v[50:51] neg_lo:[0,1] neg_hi:[0,1]
	v_add_u32_e32 v50, 0x2300, v68
	v_mov_b32_e32 v53, v49
	v_add_u32_e32 v48, 0x13c0, v68
	ds_write2_b64 v48, v[52:53], v[66:67] offset0:6 offset1:248
	v_mov_b32_e32 v48, v46
	v_mov_b32_e32 v49, v110
	ds_write2_b64 v50, v[44:45], v[48:49] offset0:2 offset1:244
	v_mov_b32_e32 v48, v47
	v_mov_b32_e32 v49, v111
	ds_write_b64 v68, v[48:49] offset:12848
.LBB0_11:
	s_or_b64 exec, exec, s[6:7]
	v_mov_b32_e32 v69, 0
	v_lshl_add_u64 v[48:49], s[4:5], 0, v[68:69]
	s_mov_b64 s[6:7], 0x34f0
	s_movk_i32 s4, 0x3000
	v_lshl_add_u64 v[52:53], v[48:49], 0, s[6:7]
	s_waitcnt lgkmcnt(0)
	s_barrier
	v_add_co_u32_e64 v50, s[4:5], s4, v48
	global_load_dwordx2 v[54:55], v[52:53], off offset:1232
	s_nop 0
	v_addc_co_u32_e64 v51, s[4:5], 0, v49, s[4:5]
	global_load_dwordx2 v[56:57], v[50:51], off offset:1264
	global_load_dwordx2 v[64:65], v[52:53], off offset:2464
	global_load_dwordx2 v[66:67], v[52:53], off offset:3696
	s_movk_i32 s4, 0x4000
	v_add_co_u32_e64 v50, s[4:5], s4, v48
	v_add_u32_e32 v69, 0x800, v68
	s_nop 0
	v_addc_co_u32_e64 v51, s[4:5], 0, v49, s[4:5]
	s_movk_i32 s4, 0x5000
	global_load_dwordx2 v[120:121], v[50:51], off offset:2096
	global_load_dwordx2 v[122:123], v[50:51], off offset:3328
	v_add_co_u32_e64 v50, s[4:5], s4, v48
	v_mov_b32_e32 v112, v98
	s_nop 0
	v_addc_co_u32_e64 v51, s[4:5], 0, v49, s[4:5]
	global_load_dwordx2 v[124:125], v[50:51], off offset:464
	global_load_dwordx2 v[126:127], v[50:51], off offset:1696
	s_movk_i32 s4, 0x6000
	v_add_co_u32_e64 v48, s[4:5], s4, v48
	global_load_dwordx2 v[128:129], v[50:51], off offset:2928
	s_nop 0
	v_addc_co_u32_e64 v49, s[4:5], 0, v49, s[4:5]
	global_load_dwordx2 v[130:131], v[48:49], off offset:64
	global_load_dwordx2 v[132:133], v[48:49], off offset:1296
	ds_read2_b64 v[48:51], v68 offset1:154
	v_mov_b32_e32 v113, v98
	v_add_u32_e32 v98, 0x1200, v68
	v_add_u32_e32 v109, 0x1c00, v68
	;; [unrolled: 1-line block ×3, first 2 shown]
	s_mov_b32 s24, 0xbf0a6770
	s_mov_b32 s28, 0xbf68dda4
	;; [unrolled: 1-line block ×16, first 2 shown]
	v_mov_b32_e32 v118, v104
	v_mov_b32_e32 v119, v104
	;; [unrolled: 1-line block ×9, first 2 shown]
	s_waitcnt vmcnt(10) lgkmcnt(0)
	v_mul_f32_e32 v52, v51, v55
	v_mul_f32_e32 v53, v50, v55
	s_waitcnt vmcnt(9)
	v_mul_f32_e32 v58, v49, v57
	v_mul_f32_e32 v55, v48, v57
	v_fma_f32 v52, v50, v54, -v52
	v_fmac_f32_e32 v53, v51, v54
	v_fma_f32 v54, v48, v56, -v58
	v_fmac_f32_e32 v55, v49, v56
	ds_write2_b64 v68, v[54:55], v[52:53] offset1:154
	ds_read2_b64 v[48:51], v69 offset0:52 offset1:206
	ds_read2_b64 v[52:55], v98 offset0:40 offset1:194
	;; [unrolled: 1-line block ×4, first 2 shown]
	s_waitcnt vmcnt(6) lgkmcnt(2)
	v_mul_f32_e32 v138, v53, v121
	v_mul_f32_e32 v134, v49, v65
	;; [unrolled: 1-line block ×6, first 2 shown]
	s_waitcnt vmcnt(5)
	v_mul_f32_e32 v139, v55, v123
	v_mul_f32_e32 v121, v54, v123
	s_waitcnt vmcnt(4) lgkmcnt(1)
	v_mul_f32_e32 v147, v57, v125
	v_mul_f32_e32 v123, v56, v125
	s_waitcnt vmcnt(3)
	v_mul_f32_e32 v148, v59, v127
	v_mul_f32_e32 v125, v58, v127
	v_fma_f32 v134, v48, v64, -v134
	v_fmac_f32_e32 v135, v49, v64
	v_fma_f32 v64, v50, v66, -v137
	v_fmac_f32_e32 v65, v51, v66
	;; [unrolled: 2-line block ×6, first 2 shown]
	ds_write2_b64 v69, v[134:135], v[64:65] offset0:52 offset1:206
	ds_write2_b64 v98, v[66:67], v[120:121] offset0:40 offset1:194
	;; [unrolled: 1-line block ×3, first 2 shown]
	ds_read_b64 v[50:51], v68 offset:12320
	s_waitcnt vmcnt(2) lgkmcnt(4)
	v_mul_f32_e32 v48, v61, v129
	v_mul_f32_e32 v49, v60, v129
	s_waitcnt vmcnt(1)
	v_mul_f32_e32 v52, v63, v131
	v_mul_f32_e32 v53, v62, v131
	v_fma_f32 v48, v60, v128, -v48
	v_fmac_f32_e32 v49, v61, v128
	v_fma_f32 v52, v62, v130, -v52
	v_fmac_f32_e32 v53, v63, v130
	ds_write2_b64 v136, v[48:49], v[52:53] offset0:80 offset1:234
	s_waitcnt vmcnt(0) lgkmcnt(1)
	v_mul_f32_e32 v48, v51, v133
	v_mul_f32_e32 v49, v50, v133
	v_fma_f32 v48, v50, v132, -v48
	v_fmac_f32_e32 v49, v51, v132
	ds_write_b64 v68, v[48:49] offset:12320
	s_waitcnt lgkmcnt(0)
	s_barrier
	ds_read2_b64 v[48:51], v68 offset1:154
	ds_read2_b64 v[56:59], v69 offset0:52 offset1:206
	ds_read2_b64 v[64:67], v98 offset0:40 offset1:194
	;; [unrolled: 1-line block ×4, first 2 shown]
	ds_read_b64 v[52:53], v68 offset:12320
	s_waitcnt lgkmcnt(5)
	v_pk_add_f32 v[54:55], v[48:49], v[50:51]
	s_waitcnt lgkmcnt(0)
	v_pk_add_f32 v[54:55], v[54:55], v[56:57]
	v_pk_add_f32 v[132:133], v[62:63], v[56:57]
	;; [unrolled: 1-line block ×5, first 2 shown]
	v_pk_add_f32 v[128:129], v[50:51], v[52:53] neg_lo:[0,1] neg_hi:[0,1]
	v_pk_add_f32 v[54:55], v[54:55], v[66:67]
	v_pk_mul_f32 v[50:51], v[128:129], s[28:29] op_sel_hi:[1,0]
	v_pk_add_f32 v[54:55], v[54:55], v[120:121]
	v_pk_add_f32 v[134:135], v[56:57], v[62:63] neg_lo:[0,1] neg_hi:[0,1]
	v_pk_add_f32 v[54:55], v[54:55], v[122:123]
	v_pk_add_f32 v[156:157], v[120:121], v[66:67]
	;; [unrolled: 1-line block ×3, first 2 shown]
	v_pk_add_f32 v[66:67], v[66:67], v[120:121] neg_lo:[0,1] neg_hi:[0,1]
	v_pk_add_f32 v[54:55], v[54:55], v[62:63]
	v_mov_b32_e32 v120, v126
	v_mov_b32_e32 v121, v128
	v_pk_add_f32 v[124:125], v[54:55], v[52:53]
	v_pk_fma_f32 v[52:53], v[126:127], s[4:5], v[50:51] op_sel:[0,0,1] op_sel_hi:[1,0,0]
	v_pk_fma_f32 v[50:51], v[126:127], s[4:5], v[50:51] op_sel:[0,0,1] op_sel_hi:[1,0,0] neg_lo:[0,0,1] neg_hi:[0,0,1]
	v_mov_b32_e32 v158, v129
	v_mov_b32_e32 v159, v127
	v_pk_mul_f32 v[160:161], v[120:121], s[20:21]
	v_mov_b32_e32 v166, v132
	v_mov_b32_e32 v167, v134
	s_mov_b32 s5, s28
	v_pk_fma_f32 v[162:163], v[158:159], s[24:25], v[160:161]
	v_pk_fma_f32 v[120:121], v[158:159], s[24:25], v[160:161] neg_lo:[1,0,0] neg_hi:[1,0,0]
	v_mov_b32_e32 v164, v135
	v_mov_b32_e32 v165, v133
	s_mov_b32 s29, s4
	v_pk_mul_f32 v[166:167], v[166:167], s[4:5]
	v_pk_mul_f32 v[54:55], v[134:135], s[14:15] op_sel_hi:[1,0]
	v_pk_add_f32 v[152:153], v[122:123], v[64:65]
	v_pk_add_f32 v[122:123], v[64:65], v[122:123] neg_lo:[0,1] neg_hi:[0,1]
	v_mov_b32_e32 v121, v163
	v_pk_fma_f32 v[168:169], v[164:165], s[28:29], v[166:167]
	v_pk_fma_f32 v[170:171], v[164:165], s[28:29], v[166:167] neg_lo:[1,0,0] neg_hi:[1,0,0]
	v_mov_b32_e32 v130, v52
	v_mov_b32_e32 v131, v51
	v_pk_fma_f32 v[56:57], v[132:133], s[6:7], v[54:55] op_sel:[0,0,1] op_sel_hi:[1,0,0]
	v_pk_fma_f32 v[54:55], v[132:133], s[6:7], v[54:55] op_sel:[0,0,1] op_sel_hi:[1,0,0] neg_lo:[0,0,1] neg_hi:[0,0,1]
	v_pk_add_f32 v[138:139], v[60:61], v[58:59]
	v_pk_add_f32 v[148:149], v[58:59], v[60:61] neg_lo:[0,1] neg_hi:[0,1]
	v_pk_mul_f32 v[62:63], v[122:123], s[22:23] op_sel_hi:[1,0]
	v_pk_add_f32 v[120:121], v[48:49], v[120:121]
	v_mov_b32_e32 v171, v169
	s_mov_b32 s20, 0xbf7d64f0
	v_mov_b32_e32 v136, v56
	v_mov_b32_e32 v137, v55
	v_pk_fma_f32 v[64:65], v[152:153], s[16:17], v[62:63] op_sel:[0,0,1] op_sel_hi:[1,0,0]
	v_pk_fma_f32 v[62:63], v[152:153], s[16:17], v[62:63] op_sel:[0,0,1] op_sel_hi:[1,0,0] neg_lo:[0,0,1] neg_hi:[0,0,1]
	v_pk_add_f32 v[130:131], v[48:49], v[130:131]
	v_pk_add_f32 v[120:121], v[170:171], v[120:121]
	v_mov_b32_e32 v170, v138
	v_mov_b32_e32 v171, v148
	s_mov_b32 s17, s20
	v_pk_add_f32 v[130:131], v[136:137], v[130:131]
	v_mov_b32_e32 v136, v149
	v_mov_b32_e32 v137, v139
	s_mov_b32 s21, s16
	v_pk_mul_f32 v[170:171], v[170:171], s[16:17]
	v_pk_mul_f32 v[58:59], v[148:149], s[26:27] op_sel_hi:[1,0]
	v_pk_fma_f32 v[172:173], v[136:137], s[20:21], v[170:171]
	v_pk_fma_f32 v[174:175], v[136:137], s[20:21], v[170:171] neg_lo:[1,0,0] neg_hi:[1,0,0]
	v_pk_fma_f32 v[60:61], v[138:139], s[18:19], v[58:59] op_sel:[0,0,1] op_sel_hi:[1,0,0]
	v_pk_fma_f32 v[58:59], v[138:139], s[18:19], v[58:59] op_sel:[0,0,1] op_sel_hi:[1,0,0] neg_lo:[0,0,1] neg_hi:[0,0,1]
	v_mov_b32_e32 v175, v173
	v_mov_b32_e32 v150, v60
	;; [unrolled: 1-line block ×3, first 2 shown]
	v_pk_add_f32 v[120:121], v[174:175], v[120:121]
	v_mov_b32_e32 v174, v152
	v_mov_b32_e32 v175, v122
	s_mov_b32 s7, s14
	v_pk_add_f32 v[130:131], v[150:151], v[130:131]
	v_mov_b32_e32 v150, v123
	v_mov_b32_e32 v151, v153
	s_mov_b32 s15, s6
	v_pk_mul_f32 v[174:175], v[174:175], s[6:7]
	v_pk_fma_f32 v[158:159], v[158:159], s[24:25], v[160:161] neg_lo:[0,0,1] neg_hi:[0,0,1]
	v_pk_fma_f32 v[176:177], v[150:151], s[14:15], v[174:175]
	v_pk_fma_f32 v[178:179], v[150:151], s[14:15], v[174:175] neg_lo:[1,0,0] neg_hi:[1,0,0]
	v_mov_b32_e32 v163, v159
	v_mov_b32_e32 v179, v177
	v_pk_fma_f32 v[160:161], v[164:165], s[28:29], v[166:167] neg_lo:[0,0,1] neg_hi:[0,0,1]
	v_mov_b32_e32 v154, v64
	v_mov_b32_e32 v155, v63
	v_pk_add_f32 v[120:121], v[178:179], v[120:121]
	v_mov_b32_e32 v178, v156
	v_mov_b32_e32 v179, v66
	s_mov_b32 s19, s30
	v_pk_add_f32 v[158:159], v[48:49], v[162:163]
	v_mov_b32_e32 v169, v161
	v_pk_fma_f32 v[136:137], v[136:137], s[20:21], v[170:171] neg_lo:[0,0,1] neg_hi:[0,0,1]
	v_pk_add_f32 v[130:131], v[154:155], v[130:131]
	v_mov_b32_e32 v154, v67
	v_mov_b32_e32 v155, v157
	v_pk_mul_f32 v[178:179], v[178:179], s[18:19]
	v_pk_add_f32 v[158:159], v[168:169], v[158:159]
	v_mov_b32_e32 v173, v137
	v_pk_fma_f32 v[150:151], v[150:151], s[14:15], v[174:175] neg_lo:[0,0,1] neg_hi:[0,0,1]
	v_pk_fma_f32 v[180:181], v[154:155], s[30:31], v[178:179]
	v_pk_fma_f32 v[182:183], v[154:155], s[30:31], v[178:179] neg_lo:[1,0,0] neg_hi:[1,0,0]
	v_pk_add_f32 v[136:137], v[172:173], v[158:159]
	v_mov_b32_e32 v177, v151
	v_pk_fma_f32 v[150:151], v[154:155], s[30:31], v[178:179] neg_lo:[0,0,1] neg_hi:[0,0,1]
	v_mov_b32_e32 v183, v181
	v_pk_add_f32 v[136:137], v[176:177], v[136:137]
	v_mov_b32_e32 v181, v151
	v_pk_add_f32 v[136:137], v[180:181], v[136:137]
	s_barrier
	ds_write2_b64 v81, v[124:125], v[136:137] offset1:1
	v_pk_mul_f32 v[124:125], v[128:129], s[20:21] op_sel_hi:[1,0]
	v_pk_mul_f32 v[154:155], v[134:135], s[26:27] op_sel_hi:[1,0]
	v_pk_fma_f32 v[136:137], v[126:127], s[16:17], v[124:125] op_sel:[0,0,1] op_sel_hi:[1,0,0]
	v_pk_fma_f32 v[124:125], v[126:127], s[16:17], v[124:125] op_sel:[0,0,1] op_sel_hi:[1,0,0] neg_lo:[0,0,1] neg_hi:[0,0,1]
	s_mov_b32 s26, 0x3f68dda4
	v_mov_b32_e32 v150, v136
	v_mov_b32_e32 v151, v125
	v_pk_fma_f32 v[158:159], v[132:133], s[18:19], v[154:155] op_sel:[0,0,1] op_sel_hi:[1,0,0]
	v_pk_fma_f32 v[154:155], v[132:133], s[18:19], v[154:155] op_sel:[0,0,1] op_sel_hi:[1,0,0] neg_lo:[0,0,1] neg_hi:[0,0,1]
	v_pk_mul_f32 v[162:163], v[148:149], s[26:27] op_sel_hi:[1,0]
	v_mov_b32_e32 v160, v158
	v_mov_b32_e32 v161, v155
	v_pk_fma_f32 v[164:165], v[138:139], s[4:5], v[162:163] op_sel:[0,0,1] op_sel_hi:[1,0,0]
	v_pk_fma_f32 v[162:163], v[138:139], s[4:5], v[162:163] op_sel:[0,0,1] op_sel_hi:[1,0,0] neg_lo:[0,0,1] neg_hi:[0,0,1]
	v_pk_mul_f32 v[168:169], v[122:123], s[24:25] op_sel_hi:[1,0]
	v_pk_add_f32 v[150:151], v[48:49], v[150:151]
	v_pk_add_f32 v[120:121], v[182:183], v[120:121]
	v_pk_mul_f32 v[182:183], v[66:67], s[36:37] op_sel_hi:[1,0]
	v_mov_b32_e32 v166, v164
	v_mov_b32_e32 v167, v163
	v_pk_fma_f32 v[170:171], v[152:153], s[34:35], v[168:169] op_sel:[0,0,1] op_sel_hi:[1,0,0]
	v_pk_fma_f32 v[168:169], v[152:153], s[34:35], v[168:169] op_sel:[0,0,1] op_sel_hi:[1,0,0] neg_lo:[0,0,1] neg_hi:[0,0,1]
	v_pk_add_f32 v[150:151], v[160:161], v[150:151]
	v_pk_mul_f32 v[160:161], v[66:67], s[14:15] op_sel_hi:[1,0]
	v_pk_fma_f32 v[184:185], v[156:157], s[34:35], v[182:183] op_sel:[0,0,1] op_sel_hi:[1,0,0]
	v_pk_fma_f32 v[182:183], v[156:157], s[34:35], v[182:183] op_sel:[0,0,1] op_sel_hi:[1,0,0] neg_lo:[0,0,1] neg_hi:[0,0,1]
	v_mov_b32_e32 v172, v170
	v_mov_b32_e32 v173, v169
	v_pk_add_f32 v[150:151], v[166:167], v[150:151]
	v_pk_fma_f32 v[166:167], v[156:157], s[6:7], v[160:161] op_sel:[0,0,1] op_sel_hi:[1,0,0]
	v_pk_fma_f32 v[160:161], v[156:157], s[6:7], v[160:161] op_sel:[0,0,1] op_sel_hi:[1,0,0] neg_lo:[0,0,1] neg_hi:[0,0,1]
	v_mov_b32_e32 v186, v184
	v_mov_b32_e32 v187, v183
	v_pk_add_f32 v[150:151], v[172:173], v[150:151]
	v_mov_b32_e32 v172, v166
	v_mov_b32_e32 v173, v161
	v_pk_add_f32 v[130:131], v[186:187], v[130:131]
	v_pk_add_f32 v[150:151], v[172:173], v[150:151]
	ds_write2_b64 v81, v[130:131], v[150:151] offset0:2 offset1:3
	v_pk_mul_f32 v[130:131], v[128:129], s[14:15] op_sel_hi:[1,0]
	v_pk_mul_f32 v[174:175], v[134:135], s[22:23] op_sel_hi:[1,0]
	v_pk_fma_f32 v[150:151], v[126:127], s[6:7], v[130:131] op_sel:[0,0,1] op_sel_hi:[1,0,0]
	v_pk_fma_f32 v[130:131], v[126:127], s[6:7], v[130:131] op_sel:[0,0,1] op_sel_hi:[1,0,0] neg_lo:[0,0,1] neg_hi:[0,0,1]
	v_mov_b32_e32 v172, v150
	v_mov_b32_e32 v173, v131
	v_pk_fma_f32 v[176:177], v[132:133], s[16:17], v[174:175] op_sel:[0,0,1] op_sel_hi:[1,0,0]
	v_pk_fma_f32 v[174:175], v[132:133], s[16:17], v[174:175] op_sel:[0,0,1] op_sel_hi:[1,0,0] neg_lo:[0,0,1] neg_hi:[0,0,1]
	v_pk_mul_f32 v[180:181], v[148:149], s[24:25] op_sel_hi:[1,0]
	v_mov_b32_e32 v178, v176
	v_mov_b32_e32 v179, v175
	v_pk_fma_f32 v[186:187], v[138:139], s[34:35], v[180:181] op_sel:[0,0,1] op_sel_hi:[1,0,0]
	v_pk_fma_f32 v[180:181], v[138:139], s[34:35], v[180:181] op_sel:[0,0,1] op_sel_hi:[1,0,0] neg_lo:[0,0,1] neg_hi:[0,0,1]
	v_pk_mul_f32 v[190:191], v[122:123], s[30:31] op_sel_hi:[1,0]
	v_pk_add_f32 v[172:173], v[48:49], v[172:173]
	v_mov_b32_e32 v188, v186
	v_mov_b32_e32 v189, v181
	v_pk_fma_f32 v[192:193], v[152:153], s[18:19], v[190:191] op_sel:[0,0,1] op_sel_hi:[1,0,0]
	v_pk_fma_f32 v[190:191], v[152:153], s[18:19], v[190:191] op_sel:[0,0,1] op_sel_hi:[1,0,0] neg_lo:[0,0,1] neg_hi:[0,0,1]
	v_pk_add_f32 v[172:173], v[178:179], v[172:173]
	v_pk_mul_f32 v[178:179], v[66:67], s[26:27] op_sel_hi:[1,0]
	v_mov_b32_e32 v194, v192
	v_mov_b32_e32 v195, v191
	v_pk_add_f32 v[172:173], v[188:189], v[172:173]
	v_pk_fma_f32 v[188:189], v[156:157], s[4:5], v[178:179] op_sel:[0,0,1] op_sel_hi:[1,0,0]
	v_pk_fma_f32 v[178:179], v[156:157], s[4:5], v[178:179] op_sel:[0,0,1] op_sel_hi:[1,0,0] neg_lo:[0,0,1] neg_hi:[0,0,1]
	v_pk_add_f32 v[172:173], v[194:195], v[172:173]
	v_mov_b32_e32 v194, v188
	v_mov_b32_e32 v195, v179
	v_pk_mul_f32 v[128:129], v[128:129], s[30:31] op_sel_hi:[1,0]
	v_pk_add_f32 v[172:173], v[194:195], v[172:173]
	v_pk_fma_f32 v[194:195], v[126:127], s[18:19], v[128:129] op_sel:[0,0,1] op_sel_hi:[1,0,0]
	v_pk_fma_f32 v[126:127], v[126:127], s[18:19], v[128:129] op_sel:[0,0,1] op_sel_hi:[1,0,0] neg_lo:[0,0,1] neg_hi:[0,0,1]
	v_pk_mul_f32 v[134:135], v[134:135], s[36:37] op_sel_hi:[1,0]
	v_mov_b32_e32 v129, v127
	v_pk_fma_f32 v[196:197], v[132:133], s[34:35], v[134:135] op_sel:[0,0,1] op_sel_hi:[1,0,0]
	v_pk_fma_f32 v[132:133], v[132:133], s[34:35], v[134:135] op_sel:[0,0,1] op_sel_hi:[1,0,0] neg_lo:[0,0,1] neg_hi:[0,0,1]
	v_pk_mul_f32 v[148:149], v[148:149], s[14:15] op_sel_hi:[1,0]
	v_mov_b32_e32 v127, v195
	v_mov_b32_e32 v128, v194
	;; [unrolled: 1-line block ×3, first 2 shown]
	v_pk_fma_f32 v[198:199], v[138:139], s[6:7], v[148:149] op_sel:[0,0,1] op_sel_hi:[1,0,0]
	v_pk_fma_f32 v[138:139], v[138:139], s[6:7], v[148:149] op_sel:[0,0,1] op_sel_hi:[1,0,0] neg_lo:[0,0,1] neg_hi:[0,0,1]
	v_pk_mul_f32 v[122:123], v[122:123], s[26:27] op_sel_hi:[1,0]
	v_mov_b32_e32 v133, v197
	v_pk_add_f32 v[126:127], v[48:49], v[126:127]
	v_mov_b32_e32 v134, v196
	v_mov_b32_e32 v149, v139
	v_pk_fma_f32 v[200:201], v[152:153], s[4:5], v[122:123] op_sel:[0,0,1] op_sel_hi:[1,0,0]
	v_pk_fma_f32 v[122:123], v[152:153], s[4:5], v[122:123] op_sel:[0,0,1] op_sel_hi:[1,0,0] neg_lo:[0,0,1] neg_hi:[0,0,1]
	v_pk_add_f32 v[128:129], v[48:49], v[128:129]
	v_pk_mul_f32 v[66:67], v[66:67], s[20:21] op_sel_hi:[1,0]
	v_mov_b32_e32 v139, v199
	v_pk_add_f32 v[126:127], v[132:133], v[126:127]
	v_mov_b32_e32 v148, v198
	v_mov_b32_e32 v153, v123
	v_pk_add_f32 v[128:129], v[134:135], v[128:129]
	v_pk_fma_f32 v[134:135], v[156:157], s[16:17], v[66:67] op_sel:[0,0,1] op_sel_hi:[1,0,0]
	v_pk_fma_f32 v[66:67], v[156:157], s[16:17], v[66:67] op_sel:[0,0,1] op_sel_hi:[1,0,0] neg_lo:[0,0,1] neg_hi:[0,0,1]
	v_mov_b32_e32 v123, v201
	v_pk_add_f32 v[126:127], v[138:139], v[126:127]
	v_pk_add_f32 v[128:129], v[148:149], v[128:129]
	v_mov_b32_e32 v149, v67
	v_pk_add_f32 v[122:123], v[122:123], v[126:127]
	v_mov_b32_e32 v67, v135
	v_mov_b32_e32 v131, v151
	v_pk_add_f32 v[66:67], v[66:67], v[122:123]
	v_mov_b32_e32 v175, v177
	v_pk_add_f32 v[122:123], v[48:49], v[130:131]
	v_mov_b32_e32 v181, v187
	v_pk_add_f32 v[122:123], v[174:175], v[122:123]
	v_mov_b32_e32 v191, v193
	v_pk_add_f32 v[122:123], v[180:181], v[122:123]
	v_mov_b32_e32 v179, v189
	v_pk_add_f32 v[122:123], v[190:191], v[122:123]
	v_mov_b32_e32 v125, v137
	v_pk_add_f32 v[122:123], v[178:179], v[122:123]
	v_mov_b32_e32 v51, v53
	ds_write2_b64 v81, v[66:67], v[122:123] offset0:6 offset1:7
	v_mov_b32_e32 v155, v159
	v_pk_add_f32 v[66:67], v[48:49], v[124:125]
	v_mov_b32_e32 v55, v57
	v_pk_add_f32 v[48:49], v[48:49], v[50:51]
	;; [unrolled: 2-line block ×4, first 2 shown]
	v_mov_b32_e32 v152, v200
	v_mov_b32_e32 v169, v171
	v_pk_add_f32 v[66:67], v[162:163], v[66:67]
	v_mov_b32_e32 v63, v65
	v_pk_add_f32 v[48:49], v[58:59], v[48:49]
	v_pk_add_f32 v[128:129], v[152:153], v[128:129]
	v_mov_b32_e32 v148, v134
	v_pk_add_f32 v[66:67], v[168:169], v[66:67]
	v_mov_b32_e32 v161, v167
	;; [unrolled: 2-line block ×3, first 2 shown]
	v_pk_add_f32 v[128:129], v[148:149], v[128:129]
	v_pk_add_f32 v[66:67], v[160:161], v[66:67]
	;; [unrolled: 1-line block ×3, first 2 shown]
	ds_write2_b64 v81, v[172:173], v[128:129] offset0:4 offset1:5
	ds_write2_b64 v81, v[66:67], v[48:49] offset0:8 offset1:9
	ds_write_b64 v81, v[120:121] offset:80
	v_add_u32_e32 v48, 0x1300, v68
	s_waitcnt lgkmcnt(0)
	s_barrier
	ds_read2_b64 v[60:63], v68 offset1:154
	ds_read2_b64 v[48:51], v48 offset0:8 offset1:239
	ds_read2_b64 v[64:67], v19 offset0:41 offset1:195
	ds_read2_b64 v[56:59], v69 offset0:52 offset1:206
	v_add_u32_e32 v19, 0x2800, v68
	ds_read2_b64 v[52:55], v19 offset0:29 offset1:183
	v_mov_b32_e32 v98, v99
	v_mov_b32_e32 v138, v106
	;; [unrolled: 1-line block ×4, first 2 shown]
	s_and_saveexec_b64 s[4:5], vcc
	s_cbranch_execz .LBB0_13
; %bb.12:
	ds_read_b64 v[120:121], v68 offset:6160
	ds_read_b64 v[44:45], v68 offset:12936
.LBB0_13:
	s_or_b64 exec, exec, s[4:5]
	s_waitcnt lgkmcnt(0)
	v_mov_b32_e32 v148, v45
	v_pk_mul_f32 v[104:105], v[104:105], v[50:51]
	v_pk_mul_f32 v[148:149], v[96:97], v[148:149] op_sel_hi:[1,0]
	v_pk_mul_f32 v[102:103], v[102:103], v[64:65]
	v_pk_fma_f32 v[150:151], v[96:97], v[44:45], v[148:149] op_sel:[0,0,1] op_sel_hi:[1,0,0] neg_lo:[1,0,0] neg_hi:[1,0,0]
	v_pk_fma_f32 v[44:45], v[96:97], v[44:45], v[148:149] op_sel:[0,0,1] op_sel_hi:[1,0,0]
	v_pk_fma_f32 v[96:97], v[118:119], v[50:51], v[104:105] op_sel:[0,0,1] op_sel_hi:[1,1,0]
	v_pk_fma_f32 v[50:51], v[118:119], v[50:51], v[104:105] op_sel:[0,0,1] op_sel_hi:[1,1,0] neg_lo:[0,0,1] neg_hi:[0,0,1]
	s_nop 0
	v_mov_b32_e32 v97, v51
	v_pk_add_f32 v[50:51], v[60:61], v[96:97] neg_lo:[0,1] neg_hi:[0,1]
	s_barrier
	v_pk_fma_f32 v[60:61], v[60:61], 2.0, v[50:51] op_sel_hi:[1,0,1] neg_lo:[0,0,1] neg_hi:[0,0,1]
	ds_write2_b64 v144, v[60:61], v[50:51] offset1:11
	v_pk_fma_f32 v[50:51], v[116:117], v[64:65], v[102:103] op_sel:[0,0,1] op_sel_hi:[1,1,0]
	v_pk_fma_f32 v[60:61], v[116:117], v[64:65], v[102:103] op_sel:[0,0,1] op_sel_hi:[1,1,0] neg_lo:[0,0,1] neg_hi:[0,0,1]
	v_pk_mul_f32 v[100:101], v[100:101], v[66:67]
	v_mov_b32_e32 v51, v61
	v_pk_add_f32 v[50:51], v[62:63], v[50:51] neg_lo:[0,1] neg_hi:[0,1]
	v_pk_mul_f32 v[98:99], v[98:99], v[52:53]
	v_pk_fma_f32 v[60:61], v[62:63], 2.0, v[50:51] op_sel_hi:[1,0,1] neg_lo:[0,0,1] neg_hi:[0,0,1]
	ds_write2_b64 v143, v[60:61], v[50:51] offset1:11
	v_pk_fma_f32 v[50:51], v[114:115], v[66:67], v[100:101] op_sel:[0,0,1] op_sel_hi:[1,1,0]
	v_pk_fma_f32 v[60:61], v[114:115], v[66:67], v[100:101] op_sel:[0,0,1] op_sel_hi:[1,1,0] neg_lo:[0,0,1] neg_hi:[0,0,1]
	v_pk_mul_f32 v[106:107], v[106:107], v[54:55]
	v_mov_b32_e32 v51, v61
	v_pk_add_f32 v[50:51], v[56:57], v[50:51] neg_lo:[0,1] neg_hi:[0,1]
	v_mov_b32_e32 v45, v151
	v_pk_fma_f32 v[56:57], v[56:57], 2.0, v[50:51] op_sel_hi:[1,0,1] neg_lo:[0,0,1] neg_hi:[0,0,1]
	ds_write2_b64 v142, v[56:57], v[50:51] offset1:11
	v_pk_fma_f32 v[50:51], v[112:113], v[52:53], v[98:99] op_sel:[0,0,1] op_sel_hi:[1,1,0]
	v_pk_fma_f32 v[52:53], v[112:113], v[52:53], v[98:99] op_sel:[0,0,1] op_sel_hi:[1,1,0] neg_lo:[0,0,1] neg_hi:[0,0,1]
	v_mov_b32_e32 v19, v18
	v_mov_b32_e32 v51, v53
	v_pk_add_f32 v[50:51], v[58:59], v[50:51] neg_lo:[0,1] neg_hi:[0,1]
	v_mov_b32_e32 v109, v108
	v_pk_fma_f32 v[52:53], v[58:59], 2.0, v[50:51] op_sel_hi:[1,0,1] neg_lo:[0,0,1] neg_hi:[0,0,1]
	ds_write2_b64 v71, v[52:53], v[50:51] offset1:11
	v_pk_fma_f32 v[50:51], v[138:139], v[54:55], v[106:107] op_sel:[0,0,1] op_sel_hi:[1,1,0]
	v_pk_fma_f32 v[52:53], v[138:139], v[54:55], v[106:107] op_sel:[0,0,1] op_sel_hi:[1,1,0] neg_lo:[0,0,1] neg_hi:[0,0,1]
	v_mov_b32_e32 v136, v12
	v_mov_b32_e32 v51, v53
	v_pk_add_f32 v[50:51], v[48:49], v[50:51] neg_lo:[0,1] neg_hi:[0,1]
	v_mov_b32_e32 v137, v12
	v_mov_b32_e32 v12, v13
	;; [unrolled: 1-line block ×23, first 2 shown]
	v_pk_add_f32 v[44:45], v[120:121], v[44:45] neg_lo:[0,1] neg_hi:[0,1]
	v_pk_fma_f32 v[48:49], v[48:49], 2.0, v[50:51] op_sel_hi:[1,0,1] neg_lo:[0,0,1] neg_hi:[0,0,1]
	ds_write2_b64 v146, v[48:49], v[50:51] offset1:11
	s_and_saveexec_b64 s[4:5], vcc
	s_cbranch_execz .LBB0_15
; %bb.14:
	v_mad_legacy_u16 v48, v140, 22, v141
	v_lshlrev_b32_e32 v50, 3, v48
	v_pk_fma_f32 v[48:49], v[120:121], 2.0, v[44:45] op_sel_hi:[1,0,1] neg_lo:[0,0,1] neg_hi:[0,0,1]
	ds_write2_b64 v50, v[48:49], v[44:45] offset1:11
.LBB0_15:
	s_or_b64 exec, exec, s[4:5]
	s_waitcnt lgkmcnt(0)
	s_barrier
	ds_read2_b64 v[48:51], v68 offset1:154
	v_mov_b32_e32 v56, v17
	v_add_u32_e32 v52, 0x800, v68
	ds_read2_b64 v[52:55], v52 offset0:52 offset1:206
	s_mov_b32 s6, 0xbf4178ce
	s_waitcnt lgkmcnt(1)
	v_pk_mul_f32 v[56:57], v[56:57], v[50:51] op_sel:[0,1] op_sel_hi:[1,0]
	s_mov_b32 s7, 0xbf27a4f4
	v_pk_fma_f32 v[96:97], v[16:17], v[50:51], v[56:57]
	v_pk_mul_f32 v[56:57], v[16:17], v[50:51] op_sel:[0,1] op_sel_hi:[1,0]
	s_waitcnt lgkmcnt(0)
	v_pk_mul_f32 v[98:99], v[108:109], v[52:53]
	v_mov_b32_e32 v56, v57
	v_pk_fma_f32 v[16:17], v[16:17], v[50:51], v[56:57] op_sel:[0,1,0] op_sel_hi:[1,0,1] neg_lo:[0,0,1] neg_hi:[0,0,1]
	v_add_u32_e32 v50, 0x1200, v68
	ds_read2_b64 v[56:59], v50 offset0:40 offset1:194
	v_add_u32_e32 v50, 0x1c00, v68
	ds_read2_b64 v[60:63], v50 offset0:28 offset1:182
	v_add_u32_e32 v50, 0x2400, v68
	v_pk_fma_f32 v[100:101], v[18:19], v[52:53], v[98:99] op_sel:[0,0,1] op_sel_hi:[1,1,0]
	v_pk_fma_f32 v[18:19], v[18:19], v[52:53], v[98:99] op_sel:[0,0,1] op_sel_hi:[1,1,0] neg_lo:[0,0,1] neg_hi:[0,0,1]
	v_pk_mul_f32 v[12:13], v[12:13], v[54:55]
	v_mov_b32_e32 v118, v96
	v_mov_b32_e32 v119, v16
	ds_read2_b64 v[64:67], v50 offset0:80 offset1:234
	ds_read_b64 v[50:51], v68 offset:12320
	v_mov_b32_e32 v52, v100
	v_mov_b32_e32 v53, v19
	v_pk_fma_f32 v[98:99], v[136:137], v[54:55], v[12:13] op_sel:[0,0,1] op_sel_hi:[1,1,0]
	v_pk_fma_f32 v[54:55], v[136:137], v[54:55], v[12:13] op_sel:[0,0,1] op_sel_hi:[1,1,0] neg_lo:[0,0,1] neg_hi:[0,0,1]
	s_waitcnt lgkmcnt(3)
	v_pk_mul_f32 v[14:15], v[14:15], v[56:57]
	v_pk_add_f32 v[118:119], v[48:49], v[118:119]
	v_mov_b32_e32 v12, v98
	v_mov_b32_e32 v13, v55
	v_pk_fma_f32 v[102:103], v[134:135], v[56:57], v[14:15] op_sel:[0,0,1] op_sel_hi:[1,1,0]
	v_pk_fma_f32 v[56:57], v[134:135], v[56:57], v[14:15] op_sel:[0,0,1] op_sel_hi:[1,1,0] neg_lo:[0,0,1] neg_hi:[0,0,1]
	v_pk_mul_f32 v[8:9], v[8:9], v[58:59]
	v_pk_add_f32 v[52:53], v[118:119], v[52:53]
	v_mov_b32_e32 v14, v102
	v_mov_b32_e32 v15, v57
	v_pk_fma_f32 v[104:105], v[132:133], v[58:59], v[8:9] op_sel:[0,0,1] op_sel_hi:[1,1,0]
	v_pk_fma_f32 v[58:59], v[132:133], v[58:59], v[8:9] op_sel:[0,0,1] op_sel_hi:[1,1,0] neg_lo:[0,0,1] neg_hi:[0,0,1]
	s_waitcnt lgkmcnt(2)
	v_pk_mul_f32 v[10:11], v[10:11], v[60:61]
	v_pk_add_f32 v[12:13], v[52:53], v[12:13]
	v_mov_b32_e32 v8, v104
	v_mov_b32_e32 v9, v59
	v_pk_fma_f32 v[106:107], v[130:131], v[60:61], v[10:11] op_sel:[0,0,1] op_sel_hi:[1,1,0]
	v_pk_fma_f32 v[60:61], v[130:131], v[60:61], v[10:11] op_sel:[0,0,1] op_sel_hi:[1,1,0] neg_lo:[0,0,1] neg_hi:[0,0,1]
	v_pk_mul_f32 v[0:1], v[0:1], v[62:63]
	v_pk_add_f32 v[12:13], v[12:13], v[14:15]
	;; [unrolled: 13-line block ×3, first 2 shown]
	v_mov_b32_e32 v64, v112
	v_mov_b32_e32 v65, v3
	v_pk_fma_f32 v[114:115], v[124:125], v[66:67], v[4:5] op_sel:[0,0,1] op_sel_hi:[1,1,0]
	v_pk_fma_f32 v[4:5], v[124:125], v[66:67], v[4:5] op_sel:[0,0,1] op_sel_hi:[1,1,0] neg_lo:[0,0,1] neg_hi:[0,0,1]
	s_waitcnt lgkmcnt(0)
	v_pk_mul_f32 v[6:7], v[6:7], v[50:51]
	v_pk_add_f32 v[8:9], v[8:9], v[62:63]
	v_mov_b32_e32 v66, v114
	v_mov_b32_e32 v67, v5
	v_pk_fma_f32 v[116:117], v[122:123], v[50:51], v[6:7] op_sel:[0,0,1] op_sel_hi:[1,1,0]
	v_pk_fma_f32 v[6:7], v[122:123], v[50:51], v[6:7] op_sel:[0,0,1] op_sel_hi:[1,1,0] neg_lo:[0,0,1] neg_hi:[0,0,1]
	v_pk_add_f32 v[8:9], v[8:9], v[64:65]
	v_mov_b32_e32 v50, v116
	v_mov_b32_e32 v51, v7
	v_pk_add_f32 v[8:9], v[8:9], v[66:67]
	v_pk_add_f32 v[10:11], v[96:97], v[116:117] neg_lo:[0,1] neg_hi:[0,1]
	v_pk_add_f32 v[62:63], v[8:9], v[50:51]
	v_pk_add_f32 v[8:9], v[96:97], v[116:117]
	s_mov_b32 s14, 0x3f7d64f0
	v_mov_b32_e32 v9, v10
	v_pk_add_f32 v[64:65], v[16:17], v[6:7] op_sel:[0,1] neg_lo:[0,1] neg_hi:[0,1]
	v_pk_add_f32 v[14:15], v[16:17], v[6:7] op_sel_hi:[0,1]
	s_mov_b32 s4, s7
	s_mov_b32 s5, s6
	v_pk_add_f32 v[10:11], v[100:101], v[114:115]
	v_pk_add_f32 v[12:13], v[100:101], v[114:115] neg_lo:[0,1] neg_hi:[0,1]
	s_mov_b32 s15, 0xbe11bafb
	v_mov_b32_e32 v14, v64
	v_pk_mul_f32 v[52:53], v[8:9], s[4:5]
	v_mov_b32_e32 v11, v12
	v_pk_add_f32 v[66:67], v[18:19], v[4:5] neg_lo:[0,1] neg_hi:[0,1]
	v_pk_add_f32 v[18:19], v[18:19], v[4:5]
	s_mov_b32 s26, s15
	s_mov_b32 s27, s14
	v_pk_fma_f32 v[6:7], v[64:65], s[6:7], v[52:53] neg_lo:[1,0,0] neg_hi:[1,0,0]
	v_pk_fma_f32 v[50:51], v[14:15], s[6:7], v[52:53]
	v_mov_b32_e32 v18, v67
	v_pk_mul_f32 v[96:97], v[10:11], s[26:27]
	v_mov_b32_e32 v7, v51
	v_pk_fma_f32 v[4:5], v[66:67], s[14:15], v[96:97] op_sel:[1,0,0] neg_lo:[1,0,0] neg_hi:[1,0,0]
	v_pk_fma_f32 v[100:101], v[18:19], s[14:15], v[96:97]
	v_pk_add_f32 v[6:7], v[48:49], v[6:7]
	v_mov_b32_e32 v5, v101
	s_mov_b32 s18, 0xbf0a6770
	v_pk_add_f32 v[4:5], v[4:5], v[6:7]
	v_pk_add_f32 v[12:13], v[98:99], v[112:113]
	v_pk_add_f32 v[6:7], v[98:99], v[112:113] neg_lo:[0,1] neg_hi:[0,1]
	s_mov_b32 s19, 0x3f575c64
	v_mov_b32_e32 v13, v6
	v_pk_add_f32 v[6:7], v[54:55], v[2:3] neg_lo:[0,1] neg_hi:[0,1]
	v_pk_add_f32 v[54:55], v[54:55], v[2:3]
	s_mov_b32 s34, s19
	s_mov_b32 s35, s18
	v_mov_b32_e32 v54, v7
	v_pk_mul_f32 v[98:99], v[12:13], s[34:35]
	s_mov_b32 s22, 0xbe903f40
	v_pk_fma_f32 v[2:3], v[6:7], s[18:19], v[98:99] op_sel:[1,0,0] neg_lo:[1,0,0] neg_hi:[1,0,0]
	v_pk_fma_f32 v[112:113], v[54:55], s[18:19], v[98:99]
	v_pk_add_f32 v[16:17], v[102:103], v[108:109]
	v_mov_b32_e32 v3, v113
	v_pk_add_f32 v[2:3], v[2:3], v[4:5]
	v_pk_add_f32 v[4:5], v[102:103], v[108:109] neg_lo:[0,1] neg_hi:[0,1]
	s_mov_b32 s23, 0xbf75a155
	v_mov_b32_e32 v17, v4
	v_pk_add_f32 v[4:5], v[56:57], v[0:1] neg_lo:[0,1] neg_hi:[0,1]
	v_pk_add_f32 v[102:103], v[56:57], v[0:1]
	s_mov_b32 s16, s23
	s_mov_b32 s17, s22
	v_mov_b32_e32 v102, v5
	v_pk_mul_f32 v[108:109], v[16:17], s[16:17]
	s_mov_b32 s36, 0xbf68dda4
	v_pk_fma_f32 v[0:1], v[4:5], s[22:23], v[108:109] op_sel:[1,0,0] neg_lo:[1,0,0] neg_hi:[1,0,0]
	v_pk_fma_f32 v[114:115], v[102:103], s[22:23], v[108:109]
	s_mov_b32 s37, 0x3ed4b147
	v_mov_b32_e32 v1, v115
	v_pk_add_f32 v[116:117], v[0:1], v[2:3]
	v_pk_add_f32 v[56:57], v[104:105], v[106:107]
	v_pk_add_f32 v[0:1], v[104:105], v[106:107] neg_lo:[0,1] neg_hi:[0,1]
	v_pk_add_f32 v[104:105], v[58:59], v[60:61] neg_lo:[0,1] neg_hi:[0,1]
	v_pk_add_f32 v[58:59], v[58:59], v[60:61]
	v_pk_mul_f32 v[60:61], v[8:9], s[34:35]
	s_mov_b32 s28, s37
	s_mov_b32 s29, s36
	v_mov_b32_e32 v57, v0
	v_pk_fma_f32 v[106:107], v[14:15], s[18:19], v[60:61]
	v_pk_fma_f32 v[0:1], v[14:15], s[18:19], v[60:61] neg_lo:[1,0,0] neg_hi:[1,0,0]
	v_pk_mul_f32 v[118:119], v[10:11], s[28:29]
	s_mov_b32 s24, 0xbf7d64f0
	v_mov_b32_e32 v1, v107
	v_pk_fma_f32 v[120:121], v[18:19], s[36:37], v[118:119]
	v_pk_fma_f32 v[2:3], v[18:19], s[36:37], v[118:119] neg_lo:[1,0,0] neg_hi:[1,0,0]
	s_mov_b32 s20, s15
	s_mov_b32 s21, s24
	v_pk_add_f32 v[0:1], v[48:49], v[0:1]
	v_mov_b32_e32 v3, v121
	s_mov_b32 s25, s15
	v_pk_mul_f32 v[122:123], v[12:13], s[20:21]
	v_pk_add_f32 v[0:1], v[2:3], v[0:1]
	v_pk_fma_f32 v[124:125], v[54:55], s[24:25], v[122:123]
	v_pk_fma_f32 v[2:3], v[54:55], s[24:25], v[122:123] neg_lo:[1,0,0] neg_hi:[1,0,0]
	v_pk_mul_f32 v[126:127], v[16:17], s[4:5]
	v_mov_b32_e32 v3, v125
	v_pk_add_f32 v[0:1], v[2:3], v[0:1]
	v_pk_fma_f32 v[128:129], v[102:103], s[6:7], v[126:127]
	v_pk_fma_f32 v[2:3], v[102:103], s[6:7], v[126:127] neg_lo:[1,0,0] neg_hi:[1,0,0]
	v_mov_b32_e32 v58, v105
	v_mov_b32_e32 v3, v129
	v_pk_mul_f32 v[130:131], v[56:57], s[16:17]
	v_pk_add_f32 v[0:1], v[2:3], v[0:1]
	v_pk_fma_f32 v[132:133], v[58:59], s[22:23], v[130:131]
	v_pk_fma_f32 v[2:3], v[58:59], s[22:23], v[130:131] neg_lo:[1,0,0] neg_hi:[1,0,0]
	v_pk_mul_f32 v[134:135], v[8:9], s[28:29]
	v_mov_b32_e32 v3, v133
	v_pk_add_f32 v[2:3], v[2:3], v[0:1]
	v_pk_fma_f32 v[0:1], v[64:65], s[36:37], v[134:135] neg_lo:[1,0,0] neg_hi:[1,0,0]
	v_pk_fma_f32 v[136:137], v[14:15], s[36:37], v[134:135]
	v_pk_mul_f32 v[138:139], v[10:11], s[4:5]
	v_mov_b32_e32 v1, v137
	v_pk_fma_f32 v[140:141], v[66:67], s[6:7], v[138:139] op_sel:[1,0,0] neg_lo:[1,0,0] neg_hi:[1,0,0]
	v_pk_fma_f32 v[142:143], v[18:19], s[6:7], v[138:139]
	s_mov_b32 s40, 0x3e903f40
	v_pk_add_f32 v[0:1], v[48:49], v[0:1]
	v_mov_b32_e32 v141, v143
	s_mov_b32 s28, s23
	s_mov_b32 s29, s40
	v_pk_add_f32 v[0:1], v[140:141], v[0:1]
	s_mov_b32 s41, s23
	v_pk_mul_f32 v[140:141], v[12:13], s[28:29]
	v_pk_fma_f32 v[60:61], v[14:15], s[18:19], v[60:61] neg_lo:[0,0,1] neg_hi:[0,0,1]
	v_pk_fma_f32 v[146:147], v[6:7], s[40:41], v[140:141] op_sel:[1,0,0] neg_lo:[1,0,0] neg_hi:[1,0,0]
	v_pk_fma_f32 v[148:149], v[54:55], s[40:41], v[140:141]
	s_mov_b32 s30, 0x3f0a6770
	v_mov_b32_e32 v147, v149
	v_pk_add_f32 v[0:1], v[146:147], v[0:1]
	v_pk_mul_f32 v[146:147], v[16:17], s[26:27]
	v_mov_b32_e32 v107, v61
	v_pk_fma_f32 v[150:151], v[4:5], s[14:15], v[146:147] op_sel:[1,0,0] neg_lo:[1,0,0] neg_hi:[1,0,0]
	v_pk_fma_f32 v[152:153], v[102:103], s[14:15], v[146:147]
	s_mov_b32 s26, s19
	v_mov_b32_e32 v151, v153
	s_mov_b32 s27, s30
	v_pk_add_f32 v[60:61], v[48:49], v[106:107]
	v_pk_fma_f32 v[106:107], v[18:19], s[36:37], v[118:119] neg_lo:[0,0,1] neg_hi:[0,0,1]
	v_pk_add_f32 v[0:1], v[150:151], v[0:1]
	s_mov_b32 s31, s19
	v_pk_mul_f32 v[150:151], v[56:57], s[26:27]
	v_mov_b32_e32 v121, v107
	v_pk_fma_f32 v[106:107], v[54:55], s[24:25], v[122:123] neg_lo:[0,0,1] neg_hi:[0,0,1]
	v_pk_fma_f32 v[154:155], v[104:105], s[30:31], v[150:151] op_sel:[1,0,0] neg_lo:[1,0,0] neg_hi:[1,0,0]
	v_pk_fma_f32 v[156:157], v[58:59], s[30:31], v[150:151]
	v_pk_add_f32 v[60:61], v[120:121], v[60:61]
	v_mov_b32_e32 v125, v107
	v_pk_fma_f32 v[106:107], v[102:103], s[6:7], v[126:127] neg_lo:[0,0,1] neg_hi:[0,0,1]
	v_mov_b32_e32 v155, v157
	v_pk_add_f32 v[60:61], v[124:125], v[60:61]
	v_mov_b32_e32 v129, v107
	v_pk_fma_f32 v[106:107], v[58:59], s[22:23], v[130:131] neg_lo:[0,0,1] neg_hi:[0,0,1]
	v_pk_add_f32 v[0:1], v[154:155], v[0:1]
	v_pk_mul_f32 v[154:155], v[8:9], s[20:21]
	v_pk_add_f32 v[60:61], v[128:129], v[60:61]
	v_mov_b32_e32 v133, v107
	v_pk_fma_f32 v[64:65], v[64:65], s[24:25], v[154:155] neg_lo:[1,0,0] neg_hi:[1,0,0]
	v_pk_fma_f32 v[158:159], v[14:15], s[24:25], v[154:155]
	v_pk_mul_f32 v[160:161], v[10:11], s[28:29]
	v_pk_add_f32 v[60:61], v[132:133], v[60:61]
	v_mov_b32_e32 v65, v159
	v_pk_fma_f32 v[66:67], v[66:67], s[40:41], v[160:161] op_sel:[1,0,0] neg_lo:[1,0,0] neg_hi:[1,0,0]
	v_pk_fma_f32 v[162:163], v[18:19], s[40:41], v[160:161]
	s_mov_b32 s38, 0x3f68dda4
	s_barrier
	ds_write2_b64 v145, v[62:63], v[60:61] offset1:22
	v_pk_fma_f32 v[62:63], v[18:19], s[6:7], v[138:139] neg_lo:[0,0,1] neg_hi:[0,0,1]
	v_pk_add_f32 v[64:65], v[48:49], v[64:65]
	v_mov_b32_e32 v67, v163
	s_mov_b32 s28, s37
	s_mov_b32 s29, s38
	v_mov_b32_e32 v143, v63
	v_pk_fma_f32 v[62:63], v[54:55], s[40:41], v[140:141] neg_lo:[0,0,1] neg_hi:[0,0,1]
	v_pk_add_f32 v[64:65], v[66:67], v[64:65]
	s_mov_b32 s39, s37
	v_pk_mul_f32 v[66:67], v[12:13], s[28:29]
	v_mov_b32_e32 v149, v63
	v_pk_fma_f32 v[62:63], v[102:103], s[14:15], v[146:147] neg_lo:[0,0,1] neg_hi:[0,0,1]
	v_pk_fma_f32 v[6:7], v[6:7], s[38:39], v[66:67] op_sel:[1,0,0] neg_lo:[1,0,0] neg_hi:[1,0,0]
	v_pk_fma_f32 v[164:165], v[54:55], s[38:39], v[66:67]
	v_mov_b32_e32 v153, v63
	v_pk_fma_f32 v[62:63], v[58:59], s[30:31], v[150:151] neg_lo:[0,0,1] neg_hi:[0,0,1]
	v_mov_b32_e32 v7, v165
	v_pk_fma_f32 v[60:61], v[14:15], s[36:37], v[134:135] neg_lo:[0,0,1] neg_hi:[0,0,1]
	;; [unrolled: 2-line block ×3, first 2 shown]
	v_pk_add_f32 v[6:7], v[6:7], v[64:65]
	v_pk_mul_f32 v[64:65], v[16:17], s[34:35]
	v_mov_b32_e32 v137, v61
	v_mov_b32_e32 v159, v63
	v_pk_fma_f32 v[106:107], v[18:19], s[40:41], v[160:161] neg_lo:[0,0,1] neg_hi:[0,0,1]
	v_pk_fma_f32 v[4:5], v[4:5], s[18:19], v[64:65] op_sel:[1,0,0] neg_lo:[1,0,0] neg_hi:[1,0,0]
	v_pk_fma_f32 v[166:167], v[102:103], s[18:19], v[64:65]
	v_pk_add_f32 v[60:61], v[48:49], v[136:137]
	v_pk_add_f32 v[62:63], v[48:49], v[158:159]
	v_mov_b32_e32 v163, v107
	v_pk_fma_f32 v[66:67], v[54:55], s[38:39], v[66:67] neg_lo:[0,0,1] neg_hi:[0,0,1]
	v_pk_fma_f32 v[52:53], v[14:15], s[6:7], v[52:53] neg_lo:[0,0,1] neg_hi:[0,0,1]
	v_mov_b32_e32 v5, v167
	v_pk_mul_f32 v[168:169], v[56:57], s[4:5]
	v_pk_add_f32 v[60:61], v[142:143], v[60:61]
	v_pk_add_f32 v[62:63], v[162:163], v[62:63]
	v_mov_b32_e32 v165, v67
	v_pk_fma_f32 v[64:65], v[102:103], s[18:19], v[64:65] neg_lo:[0,0,1] neg_hi:[0,0,1]
	v_mov_b32_e32 v51, v53
	v_pk_fma_f32 v[52:53], v[18:19], s[14:15], v[96:97] neg_lo:[0,0,1] neg_hi:[0,0,1]
	v_pk_add_f32 v[4:5], v[4:5], v[6:7]
	v_pk_fma_f32 v[6:7], v[104:105], s[6:7], v[168:169] op_sel:[1,0,0] neg_lo:[1,0,0] neg_hi:[1,0,0]
	v_pk_fma_f32 v[170:171], v[58:59], s[6:7], v[168:169]
	v_pk_add_f32 v[60:61], v[148:149], v[60:61]
	v_pk_add_f32 v[62:63], v[164:165], v[62:63]
	v_mov_b32_e32 v167, v65
	v_pk_fma_f32 v[64:65], v[58:59], s[6:7], v[168:169] neg_lo:[0,0,1] neg_hi:[0,0,1]
	v_mov_b32_e32 v101, v53
	v_pk_fma_f32 v[52:53], v[54:55], s[18:19], v[98:99] neg_lo:[0,0,1] neg_hi:[0,0,1]
	v_mov_b32_e32 v7, v171
	v_pk_mul_f32 v[172:173], v[56:57], s[28:29]
	v_pk_add_f32 v[60:61], v[152:153], v[60:61]
	v_pk_add_f32 v[62:63], v[166:167], v[62:63]
	v_mov_b32_e32 v171, v65
	v_mov_b32_e32 v113, v53
	v_pk_fma_f32 v[52:53], v[102:103], s[22:23], v[108:109] neg_lo:[0,0,1] neg_hi:[0,0,1]
	v_pk_add_f32 v[6:7], v[6:7], v[4:5]
	v_pk_fma_f32 v[4:5], v[104:105], s[38:39], v[172:173] op_sel:[1,0,0] neg_lo:[1,0,0] neg_hi:[1,0,0]
	v_pk_fma_f32 v[104:105], v[58:59], s[38:39], v[172:173]
	v_pk_add_f32 v[60:61], v[156:157], v[60:61]
	v_pk_add_f32 v[62:63], v[170:171], v[62:63]
	v_mov_b32_e32 v115, v53
	v_pk_fma_f32 v[52:53], v[58:59], s[38:39], v[172:173] neg_lo:[0,0,1] neg_hi:[0,0,1]
	v_pk_mul_f32 v[14:15], v[14:15], s[22:23]
	v_mov_b32_e32 v5, v105
	ds_write2_b64 v145, v[60:61], v[62:63] offset0:44 offset1:66
	v_mov_b32_e32 v105, v53
	v_pk_fma_f32 v[52:53], v[8:9], s[16:17], v[14:15]
	v_pk_fma_f32 v[60:61], v[8:9], s[16:17], v[14:15] neg_lo:[1,0,0] neg_hi:[1,0,0]
	v_pk_mul_f32 v[18:19], v[18:19], s[30:31]
	v_mov_b32_e32 v60, v52
	v_pk_fma_f32 v[62:63], v[10:11], s[26:27], v[18:19]
	v_pk_fma_f32 v[64:65], v[10:11], s[26:27], v[18:19] neg_lo:[1,0,0] neg_hi:[1,0,0]
	v_pk_fma_f32 v[8:9], v[8:9], s[16:17], v[14:15] neg_lo:[0,0,1] neg_hi:[0,0,1]
	v_pk_add_f32 v[60:61], v[48:49], v[60:61]
	v_mov_b32_e32 v64, v62
	v_pk_mul_f32 v[54:55], v[54:55], s[6:7]
	v_mov_b32_e32 v9, v53
	v_pk_fma_f32 v[10:11], v[10:11], s[26:27], v[18:19] neg_lo:[0,0,1] neg_hi:[0,0,1]
	v_pk_add_f32 v[60:61], v[64:65], v[60:61]
	v_pk_fma_f32 v[64:65], v[12:13], s[4:5], v[54:55]
	v_pk_fma_f32 v[66:67], v[12:13], s[4:5], v[54:55] neg_lo:[1,0,0] neg_hi:[1,0,0]
	v_pk_add_f32 v[8:9], v[48:49], v[8:9]
	v_mov_b32_e32 v11, v63
	v_mov_b32_e32 v66, v64
	v_pk_add_f32 v[8:9], v[10:11], v[8:9]
	v_pk_fma_f32 v[10:11], v[12:13], s[4:5], v[54:55] neg_lo:[0,0,1] neg_hi:[0,0,1]
	v_pk_add_f32 v[60:61], v[66:67], v[60:61]
	v_pk_mul_f32 v[66:67], v[102:103], s[38:39]
	v_mov_b32_e32 v11, v65
	v_pk_add_f32 v[50:51], v[48:49], v[50:51]
	v_pk_fma_f32 v[96:97], v[16:17], s[28:29], v[66:67]
	v_pk_fma_f32 v[98:99], v[16:17], s[28:29], v[66:67] neg_lo:[1,0,0] neg_hi:[1,0,0]
	v_pk_add_f32 v[8:9], v[10:11], v[8:9]
	v_pk_fma_f32 v[10:11], v[16:17], s[28:29], v[66:67] neg_lo:[0,0,1] neg_hi:[0,0,1]
	v_pk_add_f32 v[50:51], v[100:101], v[50:51]
	v_mov_b32_e32 v98, v96
	v_pk_mul_f32 v[58:59], v[58:59], s[24:25]
	v_mov_b32_e32 v11, v97
	v_pk_add_f32 v[50:51], v[112:113], v[50:51]
	v_pk_add_f32 v[60:61], v[98:99], v[60:61]
	v_pk_fma_f32 v[98:99], v[56:57], s[20:21], v[58:59]
	v_pk_fma_f32 v[100:101], v[56:57], s[20:21], v[58:59] neg_lo:[1,0,0] neg_hi:[1,0,0]
	v_pk_add_f32 v[8:9], v[10:11], v[8:9]
	v_pk_fma_f32 v[10:11], v[56:57], s[20:21], v[58:59] neg_lo:[0,0,1] neg_hi:[0,0,1]
	v_pk_add_f32 v[50:51], v[114:115], v[50:51]
	v_mov_b32_e32 v100, v98
	v_mov_b32_e32 v11, v99
	v_pk_add_f32 v[4:5], v[4:5], v[116:117]
	v_pk_add_f32 v[50:51], v[104:105], v[50:51]
	;; [unrolled: 1-line block ×4, first 2 shown]
	v_add_u32_e32 v12, 0xf00, v68
	ds_write2_b64 v145, v[50:51], v[60:61] offset0:88 offset1:110
	ds_write2_b64 v145, v[8:9], v[4:5] offset0:132 offset1:154
	;; [unrolled: 1-line block ×3, first 2 shown]
	ds_write_b64 v145, v[2:3] offset:1760
	s_waitcnt lgkmcnt(0)
	s_barrier
	ds_read2_b64 v[16:19], v12 offset0:4 offset1:246
	v_add_u32_e32 v12, 0x1e00, v68
	ds_read2_b64 v[8:11], v68 offset1:242
	ds_read2_b64 v[12:15], v12 offset0:8 offset1:250
	ds_read_b64 v[48:49], v68 offset:11616
	s_and_saveexec_b64 s[4:5], s[2:3]
	s_xor_b64 s[2:3], exec, s[4:5]
	s_andn2_saveexec_b64 s[2:3], s[2:3]
	s_cbranch_execz .LBB0_17
; %bb.16:
	v_add_u32_e32 v0, 0x480, v68
	ds_read2_b64 v[4:7], v0 offset0:10 offset1:252
	v_add_u32_e32 v0, 0x2300, v68
	ds_read2_b64 v[44:47], v0 offset0:2 offset1:244
	ds_read_b64 v[50:51], v68 offset:12848
	v_add_u32_e32 v0, 0x13c0, v68
	ds_read2_b64 v[0:3], v0 offset0:6 offset1:248
	s_waitcnt lgkmcnt(2)
	v_mov_b32_e32 v110, v47
	s_waitcnt lgkmcnt(1)
	v_mov_b32_e32 v111, v51
	v_mov_b32_e32 v47, v50
.LBB0_17:
	s_or_b64 exec, exec, s[2:3]
	s_waitcnt lgkmcnt(3)
	v_pk_mul_f32 v[62:63], v[36:37], v[18:19] op_sel:[0,1] op_sel_hi:[1,0]
	s_waitcnt lgkmcnt(2)
	v_pk_mul_f32 v[50:51], v[32:33], v[10:11] op_sel_hi:[1,0]
	v_mov_b32_e32 v52, v11
	v_mov_b32_e32 v60, v37
	;; [unrolled: 1-line block ×3, first 2 shown]
	s_waitcnt lgkmcnt(1)
	v_pk_mul_f32 v[64:65], v[38:39], v[12:13] op_sel:[0,1] op_sel_hi:[1,0]
	v_pk_mul_f32 v[54:55], v[34:35], v[16:17] op_sel_hi:[1,0]
	v_mov_b32_e32 v56, v17
	v_pk_mul_f32 v[58:59], v[36:37], v[18:19]
	v_pk_mul_f32 v[60:61], v[60:61], v[18:19] op_sel:[0,1] op_sel_hi:[1,0]
	v_pk_fma_f32 v[18:19], v[36:37], v[18:19], v[62:63] op_sel:[0,1,0] op_sel_hi:[1,0,1] neg_lo:[0,0,1] neg_hi:[0,0,1]
	v_mov_b32_e32 v62, v39
	v_mov_b32_e32 v64, v65
	v_pk_fma_f32 v[52:53], v[32:33], v[52:53], v[50:51] op_sel:[0,0,1] op_sel_hi:[1,1,0] neg_lo:[0,0,1] neg_hi:[0,0,1]
	v_pk_fma_f32 v[10:11], v[32:33], v[10:11], v[50:51] op_sel:[0,1,1] op_sel_hi:[1,1,0]
	v_pk_mul_f32 v[36:37], v[38:39], v[12:13]
	v_pk_mul_f32 v[62:63], v[62:63], v[12:13] op_sel:[0,1] op_sel_hi:[1,0]
	v_pk_fma_f32 v[12:13], v[38:39], v[12:13], v[64:65] op_sel:[0,1,0] op_sel_hi:[1,0,1] neg_lo:[0,0,1] neg_hi:[0,0,1]
	v_pk_mul_f32 v[38:39], v[40:41], v[14:15] op_sel_hi:[1,0]
	v_mov_b32_e32 v64, v15
	v_mov_b32_e32 v53, v11
	v_pk_fma_f32 v[10:11], v[34:35], v[56:57], v[54:55] op_sel:[0,0,1] op_sel_hi:[1,1,0] neg_lo:[0,0,1] neg_hi:[0,0,1]
	v_pk_fma_f32 v[16:17], v[34:35], v[16:17], v[54:55] op_sel:[0,1,1] op_sel_hi:[1,1,0]
	s_waitcnt lgkmcnt(0)
	v_pk_mul_f32 v[66:67], v[42:43], v[48:49] op_sel_hi:[1,0]
	v_mov_b32_e32 v96, v49
	v_mov_b32_e32 v11, v17
	v_pk_fma_f32 v[16:17], v[40:41], v[64:65], v[38:39] op_sel:[0,0,1] op_sel_hi:[1,1,0] neg_lo:[0,0,1] neg_hi:[0,0,1]
	v_pk_fma_f32 v[14:15], v[40:41], v[14:15], v[38:39] op_sel:[0,1,1] op_sel_hi:[1,1,0]
	v_pk_fma_f32 v[32:33], v[42:43], v[48:49], v[66:67] op_sel:[0,1,1] op_sel_hi:[1,1,0]
	v_mov_b32_e32 v17, v15
	v_pk_fma_f32 v[14:15], v[42:43], v[96:97], v[66:67] op_sel:[0,0,1] op_sel_hi:[1,1,0] neg_lo:[0,0,1] neg_hi:[0,0,1]
	v_mov_b32_e32 v37, v52
	v_mov_b32_e32 v15, v33
	;; [unrolled: 1-line block ×5, first 2 shown]
	v_pk_add_f32 v[32:33], v[52:53], v[14:15]
	v_pk_add_f32 v[34:35], v[52:53], v[14:15] neg_lo:[0,1] neg_hi:[0,1]
	v_pk_add_f32 v[38:39], v[10:11], v[16:17]
	v_pk_add_f32 v[40:41], v[10:11], v[16:17] neg_lo:[0,1] neg_hi:[0,1]
	v_pk_add_f32 v[14:15], v[36:37], v[62:63]
	v_pk_add_f32 v[10:11], v[58:59], v[60:61]
	v_mov_b32_e32 v13, v14
	v_mov_b32_e32 v19, v10
	v_pk_add_f32 v[16:17], v[12:13], v[18:19] neg_lo:[0,1] neg_hi:[0,1]
	v_mov_b32_e32 v50, v39
	v_mov_b32_e32 v51, v18
	;; [unrolled: 1-line block ×4, first 2 shown]
	v_pk_add_f32 v[12:13], v[50:51], v[18:19]
	v_pk_add_f32 v[18:19], v[10:11], v[14:15]
	v_mov_b32_e32 v36, v16
	v_mov_b32_e32 v37, v35
	;; [unrolled: 1-line block ×4, first 2 shown]
	s_mov_b32 s4, 0x3f08b237
	v_mov_b32_e32 v14, v18
	v_mov_b32_e32 v51, v13
	s_mov_b32 s20, 0x3d64c772
	v_pk_add_f32 v[36:37], v[36:37], v[42:43] neg_lo:[0,1] neg_hi:[0,1]
	s_mov_b32 s5, 0xbeae86e6
	v_mov_b32_e32 v42, v34
	v_mov_b32_e32 v48, v16
	;; [unrolled: 1-line block ×3, first 2 shown]
	v_pk_add_f32 v[50:51], v[14:15], v[50:51] neg_lo:[0,1] neg_hi:[0,1]
	v_mov_b32_e32 v52, v33
	v_mov_b32_e32 v53, v13
	;; [unrolled: 1-line block ×3, first 2 shown]
	v_pk_add_f32 v[12:13], v[12:13], v[18:19]
	s_mov_b32 s21, 0x3f4a47b2
	v_pk_mul_f32 v[36:37], v[36:37], s[4:5]
	v_pk_add_f32 v[42:43], v[42:43], v[48:49] neg_lo:[0,1] neg_hi:[0,1]
	s_mov_b32 s16, s5
	s_mov_b32 s17, s4
	v_pk_add_f32 v[16:17], v[16:17], v[40:41]
	v_pk_add_f32 v[52:53], v[52:53], v[10:11] neg_lo:[0,1] neg_hi:[0,1]
	v_pk_add_f32 v[8:9], v[8:9], v[12:13]
	s_mov_b32 s18, 0xbf955555
	v_pk_mul_f32 v[18:19], v[50:51], s[20:21]
	s_mov_b32 s22, s21
	s_mov_b32 s23, s20
	v_pk_mul_f32 v[48:49], v[42:43], s[16:17]
	v_pk_add_f32 v[16:17], v[16:17], v[34:35]
	s_mov_b32 s2, 0xbee1c552
	v_pk_mul_f32 v[50:51], v[52:53], s[22:23]
	v_pk_fma_f32 v[12:13], v[12:13], s[18:19], v[8:9] op_sel_hi:[1,0,1]
	v_pk_fma_f32 v[52:53], v[52:53], s[22:23], v[18:19]
	v_pk_fma_f32 v[42:43], v[42:43], s[16:17], v[36:37]
	v_pk_add_f32 v[52:53], v[52:53], v[12:13]
	v_pk_fma_f32 v[42:43], v[16:17], s[2:3], v[42:43] op_sel_hi:[1,0,1]
	v_mov_b32_e32 v10, v39
	v_pk_add_f32 v[54:55], v[52:53], v[42:43]
	v_pk_add_f32 v[42:43], v[52:53], v[42:43] neg_lo:[0,1] neg_hi:[0,1]
	v_mov_b32_e32 v52, v54
	v_mov_b32_e32 v53, v43
	;; [unrolled: 1-line block ×3, first 2 shown]
	ds_write2_b64 v68, v[8:9], v[52:53] offset1:242
	v_pk_add_f32 v[8:9], v[40:41], v[34:35] neg_lo:[0,1] neg_hi:[0,1]
	s_mov_b32 s6, 0xbf5ff5aa
	v_pk_add_f32 v[10:11], v[10:11], v[14:15] neg_lo:[0,1] neg_hi:[0,1]
	s_mov_b32 s14, 0x3f3bfb3b
	v_mov_b32_e32 v14, v50
	v_mov_b32_e32 v15, v19
	;; [unrolled: 1-line block ×6, first 2 shown]
	v_pk_fma_f32 v[14:15], v[10:11], s[14:15], v[14:15] op_sel_hi:[1,0,1] neg_lo:[1,0,1] neg_hi:[1,0,1]
	v_pk_fma_f32 v[32:33], v[8:9], s[6:7], v[32:33] op_sel_hi:[1,0,1] neg_lo:[1,0,1] neg_hi:[1,0,1]
	;; [unrolled: 1-line block ×4, first 2 shown]
	v_pk_add_f32 v[14:15], v[14:15], v[12:13]
	v_pk_fma_f32 v[32:33], v[16:17], s[2:3], v[32:33] op_sel_hi:[1,0,1]
	v_pk_add_f32 v[10:11], v[10:11], v[12:13]
	v_pk_fma_f32 v[8:9], v[16:17], s[2:3], v[8:9] op_sel_hi:[1,0,1]
	v_pk_add_f32 v[34:35], v[14:15], v[32:33]
	v_pk_add_f32 v[14:15], v[14:15], v[32:33] neg_lo:[0,1] neg_hi:[0,1]
	v_pk_add_f32 v[12:13], v[10:11], v[8:9] neg_lo:[0,1] neg_hi:[0,1]
	v_pk_add_f32 v[8:9], v[10:11], v[8:9]
	v_mov_b32_e32 v32, v34
	v_mov_b32_e32 v33, v15
	;; [unrolled: 1-line block ×4, first 2 shown]
	v_add_u32_e32 v9, 0xf00, v68
	ds_write2_b64 v9, v[32:33], v[10:11] offset0:4 offset1:246
	v_mov_b32_e32 v9, v13
	v_mov_b32_e32 v15, v35
	v_add_u32_e32 v10, 0x1e00, v68
	v_mov_b32_e32 v43, v55
	ds_write2_b64 v10, v[8:9], v[14:15] offset0:8 offset1:250
	ds_write_b64 v68, v[42:43] offset:11616
	s_and_saveexec_b64 s[24:25], s[0:1]
	s_cbranch_execz .LBB0_19
; %bb.18:
	v_mov_b32_e32 v8, v29
	v_mov_b32_e32 v9, v28
	v_pk_mul_f32 v[36:37], v[8:9], v[2:3]
	v_mov_b32_e32 v10, v31
	v_mov_b32_e32 v11, v30
	v_pk_mul_f32 v[16:17], v[30:31], v[44:45]
	;; [unrolled: 3-line block ×3, first 2 shown]
	v_pk_mul_f32 v[30:31], v[8:9], v[30:31]
	v_pk_fma_f32 v[2:3], v[8:9], v[2:3], v[36:37] neg_lo:[1,0,0] neg_hi:[1,0,0]
	v_pk_mul_f32 v[8:9], v[10:11], v[44:45]
	v_pk_mul_f32 v[14:15], v[26:27], v[46:47] op_sel:[0,1]
	v_mov_b32_e32 v18, v45
	v_mov_b32_e32 v8, v9
	v_pk_mul_f32 v[12:13], v[20:21], v[6:7] op_sel_hi:[1,0]
	v_pk_mul_f32 v[18:19], v[10:11], v[18:19]
	v_pk_fma_f32 v[8:9], v[10:11], v[44:45], v[8:9] neg_lo:[1,0,0] neg_hi:[1,0,0]
	v_pk_fma_f32 v[10:11], v[26:27], v[110:111], v[14:15] op_sel:[0,1,1] op_sel_hi:[1,1,0] neg_lo:[0,0,1] neg_hi:[0,0,1]
	v_pk_fma_f32 v[14:15], v[26:27], v[110:111], v[14:15] op_sel:[0,1,1] op_sel_hi:[1,1,0]
	v_pk_mul_f32 v[34:35], v[24:25], v[46:47] op_sel_hi:[1,0]
	v_mov_b32_e32 v11, v15
	v_pk_fma_f32 v[14:15], v[20:21], v[6:7], v[12:13] op_sel:[0,1,1] op_sel_hi:[1,1,0] neg_lo:[0,0,1] neg_hi:[0,0,1]
	v_pk_fma_f32 v[6:7], v[20:21], v[6:7], v[12:13] op_sel:[0,1,1] op_sel_hi:[1,1,0]
	v_pk_mul_f32 v[32:33], v[22:23], v[0:1] op_sel_hi:[1,0]
	v_mov_b32_e32 v15, v7
	v_pk_fma_f32 v[6:7], v[24:25], v[110:111], v[34:35] op_sel:[0,0,1] op_sel_hi:[1,1,0] neg_lo:[0,0,1] neg_hi:[0,0,1]
	v_pk_fma_f32 v[12:13], v[24:25], v[110:111], v[34:35] op_sel:[0,0,1] op_sel_hi:[1,0,0]
	v_mov_b32_e32 v29, v10
	v_mov_b32_e32 v7, v13
	v_pk_fma_f32 v[12:13], v[22:23], v[0:1], v[32:33] op_sel:[0,1,1] op_sel_hi:[1,1,0] neg_lo:[0,0,1] neg_hi:[0,0,1]
	v_pk_fma_f32 v[0:1], v[22:23], v[0:1], v[32:33] op_sel:[0,1,1] op_sel_hi:[1,1,0]
	v_mov_b32_e32 v31, v14
	v_mov_b32_e32 v13, v1
	v_mov_b32_e32 v17, v6
	v_mov_b32_e32 v19, v12
	v_pk_add_f32 v[0:1], v[10:11], v[14:15]
	v_pk_add_f32 v[20:21], v[6:7], v[12:13]
	v_pk_add_f32 v[22:23], v[14:15], v[10:11] neg_lo:[0,1] neg_hi:[0,1]
	v_pk_add_f32 v[24:25], v[12:13], v[6:7] neg_lo:[0,1] neg_hi:[0,1]
	v_pk_add_f32 v[10:11], v[28:29], v[30:31]
	v_pk_add_f32 v[6:7], v[16:17], v[18:19]
	v_mov_b32_e32 v3, v10
	v_mov_b32_e32 v9, v6
	v_pk_add_f32 v[12:13], v[8:9], v[2:3] neg_lo:[0,1] neg_hi:[0,1]
	v_mov_b32_e32 v27, v23
	v_mov_b32_e32 v16, v12
	v_pk_add_f32 v[18:19], v[12:13], v[24:25]
	v_mov_b32_e32 v26, v12
	v_mov_b32_e32 v12, v24
	;; [unrolled: 1-line block ×3, first 2 shown]
	v_pk_add_f32 v[12:13], v[26:27], v[12:13] neg_lo:[0,1] neg_hi:[0,1]
	v_mov_b32_e32 v26, v21
	v_mov_b32_e32 v27, v8
	;; [unrolled: 1-line block ×4, first 2 shown]
	v_pk_add_f32 v[2:3], v[26:27], v[8:9]
	v_pk_add_f32 v[8:9], v[6:7], v[10:11]
	v_mov_b32_e32 v14, v22
	v_pk_add_f32 v[26:27], v[2:3], v[8:9]
	v_mov_b32_e32 v2, v1
	v_mov_b32_e32 v9, v7
	v_pk_add_f32 v[28:29], v[2:3], v[8:9] neg_lo:[0,1] neg_hi:[0,1]
	v_mov_b32_e32 v9, v11
	v_mov_b32_e32 v2, v21
	;; [unrolled: 1-line block ×3, first 2 shown]
	v_pk_add_f32 v[2:3], v[8:9], v[2:3] neg_lo:[0,1] neg_hi:[0,1]
	v_pk_add_f32 v[14:15], v[14:15], v[16:17] neg_lo:[0,1] neg_hi:[0,1]
	v_pk_mul_f32 v[12:13], v[12:13], s[4:5]
	v_pk_add_f32 v[4:5], v[4:5], v[26:27]
	v_pk_mul_f32 v[2:3], v[2:3], s[20:21]
	v_pk_mul_f32 v[16:17], v[14:15], s[16:17]
	v_pk_add_f32 v[18:19], v[18:19], v[22:23]
	v_pk_fma_f32 v[14:15], v[14:15], s[16:17], v[12:13]
	v_pk_fma_f32 v[8:9], v[28:29], s[22:23], v[2:3]
	v_pk_fma_f32 v[26:27], v[26:27], s[18:19], v[4:5] op_sel_hi:[1,0,1]
	v_pk_fma_f32 v[14:15], v[18:19], s[2:3], v[14:15] op_sel_hi:[1,0,1]
	v_pk_add_f32 v[8:9], v[8:9], v[26:27]
	v_pk_mul_f32 v[30:31], v[28:29], s[22:23]
	v_pk_add_f32 v[28:29], v[8:9], v[14:15]
	v_pk_add_f32 v[8:9], v[8:9], v[14:15] neg_lo:[0,1] neg_hi:[0,1]
	v_mov_b32_e32 v14, v28
	v_mov_b32_e32 v15, v9
	v_add_u32_e32 v0, 0x480, v68
	v_mov_b32_e32 v6, v21
	v_mov_b32_e32 v10, v1
	ds_write2_b64 v0, v[4:5], v[14:15] offset0:10 offset1:252
	v_pk_add_f32 v[4:5], v[24:25], v[22:23] neg_lo:[0,1] neg_hi:[0,1]
	v_mov_b32_e32 v14, v16
	v_mov_b32_e32 v15, v13
	v_pk_add_f32 v[0:1], v[6:7], v[10:11] neg_lo:[0,1] neg_hi:[0,1]
	v_mov_b32_e32 v6, v30
	v_mov_b32_e32 v7, v3
	;; [unrolled: 1-line block ×4, first 2 shown]
	v_pk_fma_f32 v[14:15], v[4:5], s[6:7], v[14:15] op_sel_hi:[1,0,1] neg_lo:[1,0,1] neg_hi:[1,0,1]
	v_pk_fma_f32 v[6:7], v[0:1], s[14:15], v[6:7] op_sel_hi:[1,0,1] neg_lo:[1,0,1] neg_hi:[1,0,1]
	;; [unrolled: 1-line block ×4, first 2 shown]
	v_pk_fma_f32 v[14:15], v[18:19], s[2:3], v[14:15] op_sel_hi:[1,0,1]
	v_pk_add_f32 v[6:7], v[6:7], v[26:27]
	v_pk_fma_f32 v[4:5], v[18:19], s[2:3], v[4:5] op_sel_hi:[1,0,1]
	v_pk_add_f32 v[0:1], v[0:1], v[26:27]
	v_pk_add_f32 v[10:11], v[6:7], v[14:15]
	v_pk_add_f32 v[6:7], v[6:7], v[14:15] neg_lo:[0,1] neg_hi:[0,1]
	v_pk_add_f32 v[2:3], v[0:1], v[4:5] neg_lo:[0,1] neg_hi:[0,1]
	v_pk_add_f32 v[0:1], v[0:1], v[4:5]
	v_mov_b32_e32 v14, v10
	v_mov_b32_e32 v15, v7
	;; [unrolled: 1-line block ×4, first 2 shown]
	v_add_u32_e32 v1, 0x13c0, v68
	ds_write2_b64 v1, v[14:15], v[4:5] offset0:6 offset1:248
	v_mov_b32_e32 v1, v3
	v_mov_b32_e32 v7, v11
	v_add_u32_e32 v2, 0x2300, v68
	v_mov_b32_e32 v9, v29
	ds_write2_b64 v2, v[0:1], v[6:7] offset0:2 offset1:244
	ds_write_b64 v68, v[8:9] offset:12848
.LBB0_19:
	s_or_b64 exec, exec, s[24:25]
	s_waitcnt lgkmcnt(0)
	s_barrier
	ds_read2_b64 v[0:3], v68 offset1:154
	v_mad_u64_u32 v[6:7], s[0:1], s10, v80, 0
	v_mov_b32_e32 v8, v7
	v_mad_u64_u32 v[8:9], s[0:1], s11, v80, v[8:9]
	v_mov_b32_e32 v7, v8
	s_waitcnt lgkmcnt(0)
	v_mul_f32_e32 v8, v95, v1
	v_fmac_f32_e32 v8, v94, v0
	v_mul_f32_e32 v0, v95, v0
	s_mov_b32 s0, 0xe9078e5b
	v_fma_f32 v0, v94, v1, -v0
	v_cvt_f64_f32_e32 v[8:9], v8
	s_mov_b32 s1, 0x3f4357f3
	v_cvt_f64_f32_e32 v[0:1], v0
	v_mul_f64 v[8:9], v[8:9], s[0:1]
	v_mul_f64 v[0:1], v[0:1], s[0:1]
	v_cvt_f32_f64_e32 v8, v[8:9]
	v_cvt_f32_f64_e32 v9, v[0:1]
	v_mad_u64_u32 v[0:1], s[2:3], s8, v70, 0
	v_mov_b32_e32 v10, v1
	v_mov_b32_e32 v4, s12
	;; [unrolled: 1-line block ×3, first 2 shown]
	v_mad_u64_u32 v[10:11], s[2:3], s9, v70, v[10:11]
	v_mov_b32_e32 v1, v10
	v_lshl_add_u64 v[4:5], v[6:7], 3, v[4:5]
	v_lshl_add_u64 v[4:5], v[0:1], 3, v[4:5]
	v_mul_f32_e32 v0, v93, v3
	v_fmac_f32_e32 v0, v92, v2
	v_cvt_f64_f32_e32 v[0:1], v0
	v_mul_f64 v[0:1], v[0:1], s[0:1]
	v_cvt_f32_f64_e32 v6, v[0:1]
	v_mul_f32_e32 v0, v93, v2
	v_fma_f32 v0, v92, v3, -v0
	v_cvt_f64_f32_e32 v[0:1], v0
	v_mul_f64 v[0:1], v[0:1], s[0:1]
	v_cvt_f32_f64_e32 v7, v[0:1]
	v_add_u32_e32 v0, 0x800, v68
	ds_read2_b64 v[0:3], v0 offset0:52 offset1:206
	global_store_dwordx2 v[4:5], v[8:9], off
	v_mov_b32_e32 v8, 0x4d0
	v_mad_u64_u32 v[4:5], s[2:3], s8, v8, v[4:5]
	s_mul_i32 s4, s9, 0x4d0
	v_add_u32_e32 v5, s4, v5
	global_store_dwordx2 v[4:5], v[6:7], off
	s_waitcnt lgkmcnt(0)
	v_mul_f32_e32 v6, v89, v1
	v_fmac_f32_e32 v6, v88, v0
	v_mul_f32_e32 v0, v89, v0
	v_fma_f32 v0, v88, v1, -v0
	v_cvt_f64_f32_e32 v[6:7], v6
	v_cvt_f64_f32_e32 v[0:1], v0
	v_mul_f64 v[6:7], v[6:7], s[0:1]
	v_mul_f64 v[0:1], v[0:1], s[0:1]
	v_cvt_f32_f64_e32 v6, v[6:7]
	v_cvt_f32_f64_e32 v7, v[0:1]
	v_mul_f32_e32 v0, v85, v3
	v_fmac_f32_e32 v0, v84, v2
	v_mad_u64_u32 v[4:5], s[2:3], s8, v8, v[4:5]
	v_cvt_f64_f32_e32 v[0:1], v0
	v_add_u32_e32 v5, s4, v5
	v_mul_f64 v[0:1], v[0:1], s[0:1]
	global_store_dwordx2 v[4:5], v[6:7], off
	v_cvt_f32_f64_e32 v6, v[0:1]
	v_mul_f32_e32 v0, v85, v2
	v_fma_f32 v0, v84, v3, -v0
	v_cvt_f64_f32_e32 v[0:1], v0
	v_mul_f64 v[0:1], v[0:1], s[0:1]
	v_cvt_f32_f64_e32 v7, v[0:1]
	v_add_u32_e32 v0, 0x1200, v68
	ds_read2_b64 v[0:3], v0 offset0:40 offset1:194
	v_mad_u64_u32 v[4:5], s[2:3], s8, v8, v[4:5]
	v_add_u32_e32 v5, s4, v5
	global_store_dwordx2 v[4:5], v[6:7], off
	s_waitcnt lgkmcnt(0)
	v_mul_f32_e32 v6, v91, v1
	v_fmac_f32_e32 v6, v90, v0
	v_mul_f32_e32 v0, v91, v0
	v_fma_f32 v0, v90, v1, -v0
	v_cvt_f64_f32_e32 v[6:7], v6
	v_cvt_f64_f32_e32 v[0:1], v0
	v_mul_f64 v[6:7], v[6:7], s[0:1]
	v_mul_f64 v[0:1], v[0:1], s[0:1]
	v_cvt_f32_f64_e32 v6, v[6:7]
	v_cvt_f32_f64_e32 v7, v[0:1]
	v_mul_f32_e32 v0, v83, v3
	v_fmac_f32_e32 v0, v82, v2
	v_mad_u64_u32 v[4:5], s[2:3], s8, v8, v[4:5]
	v_cvt_f64_f32_e32 v[0:1], v0
	v_add_u32_e32 v5, s4, v5
	v_mul_f64 v[0:1], v[0:1], s[0:1]
	global_store_dwordx2 v[4:5], v[6:7], off
	v_cvt_f32_f64_e32 v6, v[0:1]
	v_mul_f32_e32 v0, v83, v2
	v_fma_f32 v0, v82, v3, -v0
	v_cvt_f64_f32_e32 v[0:1], v0
	v_mul_f64 v[0:1], v[0:1], s[0:1]
	v_cvt_f32_f64_e32 v7, v[0:1]
	v_add_u32_e32 v0, 0x1c00, v68
	ds_read2_b64 v[0:3], v0 offset0:28 offset1:182
	v_mad_u64_u32 v[4:5], s[2:3], s8, v8, v[4:5]
	;; [unrolled: 29-line block ×3, first 2 shown]
	v_add_u32_e32 v5, s4, v5
	global_store_dwordx2 v[4:5], v[6:7], off
	s_waitcnt lgkmcnt(0)
	v_mul_f32_e32 v6, v79, v1
	v_fmac_f32_e32 v6, v78, v0
	v_mul_f32_e32 v0, v79, v0
	v_fma_f32 v0, v78, v1, -v0
	v_cvt_f64_f32_e32 v[6:7], v6
	v_cvt_f64_f32_e32 v[0:1], v0
	v_mul_f64 v[6:7], v[6:7], s[0:1]
	v_mul_f64 v[0:1], v[0:1], s[0:1]
	v_cvt_f32_f64_e32 v6, v[6:7]
	v_cvt_f32_f64_e32 v7, v[0:1]
	v_mad_u64_u32 v[0:1], s[2:3], s8, v8, v[4:5]
	v_mul_f32_e32 v4, v75, v3
	v_fmac_f32_e32 v4, v74, v2
	v_mul_f32_e32 v2, v75, v2
	v_fma_f32 v2, v74, v3, -v2
	v_cvt_f64_f32_e32 v[4:5], v4
	v_cvt_f64_f32_e32 v[2:3], v2
	v_mul_f64 v[4:5], v[4:5], s[0:1]
	v_mul_f64 v[2:3], v[2:3], s[0:1]
	v_cvt_f32_f64_e32 v4, v[4:5]
	v_cvt_f32_f64_e32 v5, v[2:3]
	ds_read_b64 v[2:3], v68 offset:12320
	v_add_u32_e32 v1, s4, v1
	global_store_dwordx2 v[0:1], v[6:7], off
	v_mad_u64_u32 v[0:1], s[2:3], s8, v8, v[0:1]
	v_add_u32_e32 v1, s4, v1
	global_store_dwordx2 v[0:1], v[4:5], off
	s_waitcnt lgkmcnt(0)
	v_mul_f32_e32 v4, v73, v3
	v_fmac_f32_e32 v4, v72, v2
	v_mul_f32_e32 v2, v73, v2
	v_fma_f32 v2, v72, v3, -v2
	v_cvt_f64_f32_e32 v[4:5], v4
	v_cvt_f64_f32_e32 v[2:3], v2
	v_mul_f64 v[4:5], v[4:5], s[0:1]
	v_mul_f64 v[2:3], v[2:3], s[0:1]
	v_mad_u64_u32 v[0:1], s[0:1], s8, v8, v[0:1]
	v_cvt_f32_f64_e32 v4, v[4:5]
	v_cvt_f32_f64_e32 v5, v[2:3]
	v_add_u32_e32 v1, s4, v1
	global_store_dwordx2 v[0:1], v[4:5], off
.LBB0_20:
	s_endpgm
	.section	.rodata,"a",@progbits
	.p2align	6, 0x0
	.amdhsa_kernel bluestein_single_back_len1694_dim1_sp_op_CI_CI
		.amdhsa_group_segment_fixed_size 13552
		.amdhsa_private_segment_fixed_size 0
		.amdhsa_kernarg_size 104
		.amdhsa_user_sgpr_count 2
		.amdhsa_user_sgpr_dispatch_ptr 0
		.amdhsa_user_sgpr_queue_ptr 0
		.amdhsa_user_sgpr_kernarg_segment_ptr 1
		.amdhsa_user_sgpr_dispatch_id 0
		.amdhsa_user_sgpr_kernarg_preload_length 0
		.amdhsa_user_sgpr_kernarg_preload_offset 0
		.amdhsa_user_sgpr_private_segment_size 0
		.amdhsa_uses_dynamic_stack 0
		.amdhsa_enable_private_segment 0
		.amdhsa_system_sgpr_workgroup_id_x 1
		.amdhsa_system_sgpr_workgroup_id_y 0
		.amdhsa_system_sgpr_workgroup_id_z 0
		.amdhsa_system_sgpr_workgroup_info 0
		.amdhsa_system_vgpr_workitem_id 0
		.amdhsa_next_free_vgpr 202
		.amdhsa_next_free_sgpr 42
		.amdhsa_accum_offset 204
		.amdhsa_reserve_vcc 1
		.amdhsa_float_round_mode_32 0
		.amdhsa_float_round_mode_16_64 0
		.amdhsa_float_denorm_mode_32 3
		.amdhsa_float_denorm_mode_16_64 3
		.amdhsa_dx10_clamp 1
		.amdhsa_ieee_mode 1
		.amdhsa_fp16_overflow 0
		.amdhsa_tg_split 0
		.amdhsa_exception_fp_ieee_invalid_op 0
		.amdhsa_exception_fp_denorm_src 0
		.amdhsa_exception_fp_ieee_div_zero 0
		.amdhsa_exception_fp_ieee_overflow 0
		.amdhsa_exception_fp_ieee_underflow 0
		.amdhsa_exception_fp_ieee_inexact 0
		.amdhsa_exception_int_div_zero 0
	.end_amdhsa_kernel
	.text
.Lfunc_end0:
	.size	bluestein_single_back_len1694_dim1_sp_op_CI_CI, .Lfunc_end0-bluestein_single_back_len1694_dim1_sp_op_CI_CI
                                        ; -- End function
	.section	.AMDGPU.csdata,"",@progbits
; Kernel info:
; codeLenInByte = 16076
; NumSgprs: 48
; NumVgprs: 202
; NumAgprs: 0
; TotalNumVgprs: 202
; ScratchSize: 0
; MemoryBound: 0
; FloatMode: 240
; IeeeMode: 1
; LDSByteSize: 13552 bytes/workgroup (compile time only)
; SGPRBlocks: 5
; VGPRBlocks: 25
; NumSGPRsForWavesPerEU: 48
; NumVGPRsForWavesPerEU: 202
; AccumOffset: 204
; Occupancy: 2
; WaveLimiterHint : 1
; COMPUTE_PGM_RSRC2:SCRATCH_EN: 0
; COMPUTE_PGM_RSRC2:USER_SGPR: 2
; COMPUTE_PGM_RSRC2:TRAP_HANDLER: 0
; COMPUTE_PGM_RSRC2:TGID_X_EN: 1
; COMPUTE_PGM_RSRC2:TGID_Y_EN: 0
; COMPUTE_PGM_RSRC2:TGID_Z_EN: 0
; COMPUTE_PGM_RSRC2:TIDIG_COMP_CNT: 0
; COMPUTE_PGM_RSRC3_GFX90A:ACCUM_OFFSET: 50
; COMPUTE_PGM_RSRC3_GFX90A:TG_SPLIT: 0
	.text
	.p2alignl 6, 3212836864
	.fill 256, 4, 3212836864
	.type	__hip_cuid_e737ddcefa19ff56,@object ; @__hip_cuid_e737ddcefa19ff56
	.section	.bss,"aw",@nobits
	.globl	__hip_cuid_e737ddcefa19ff56
__hip_cuid_e737ddcefa19ff56:
	.byte	0                               ; 0x0
	.size	__hip_cuid_e737ddcefa19ff56, 1

	.ident	"AMD clang version 19.0.0git (https://github.com/RadeonOpenCompute/llvm-project roc-6.4.0 25133 c7fe45cf4b819c5991fe208aaa96edf142730f1d)"
	.section	".note.GNU-stack","",@progbits
	.addrsig
	.addrsig_sym __hip_cuid_e737ddcefa19ff56
	.amdgpu_metadata
---
amdhsa.kernels:
  - .agpr_count:     0
    .args:
      - .actual_access:  read_only
        .address_space:  global
        .offset:         0
        .size:           8
        .value_kind:     global_buffer
      - .actual_access:  read_only
        .address_space:  global
        .offset:         8
        .size:           8
        .value_kind:     global_buffer
      - .actual_access:  read_only
        .address_space:  global
        .offset:         16
        .size:           8
        .value_kind:     global_buffer
      - .actual_access:  read_only
        .address_space:  global
        .offset:         24
        .size:           8
        .value_kind:     global_buffer
      - .actual_access:  read_only
        .address_space:  global
        .offset:         32
        .size:           8
        .value_kind:     global_buffer
      - .offset:         40
        .size:           8
        .value_kind:     by_value
      - .address_space:  global
        .offset:         48
        .size:           8
        .value_kind:     global_buffer
      - .address_space:  global
        .offset:         56
        .size:           8
        .value_kind:     global_buffer
      - .address_space:  global
        .offset:         64
        .size:           8
        .value_kind:     global_buffer
      - .address_space:  global
        .offset:         72
        .size:           8
        .value_kind:     global_buffer
      - .offset:         80
        .size:           4
        .value_kind:     by_value
      - .address_space:  global
        .offset:         88
        .size:           8
        .value_kind:     global_buffer
      - .address_space:  global
        .offset:         96
        .size:           8
        .value_kind:     global_buffer
    .group_segment_fixed_size: 13552
    .kernarg_segment_align: 8
    .kernarg_segment_size: 104
    .language:       OpenCL C
    .language_version:
      - 2
      - 0
    .max_flat_workgroup_size: 154
    .name:           bluestein_single_back_len1694_dim1_sp_op_CI_CI
    .private_segment_fixed_size: 0
    .sgpr_count:     48
    .sgpr_spill_count: 0
    .symbol:         bluestein_single_back_len1694_dim1_sp_op_CI_CI.kd
    .uniform_work_group_size: 1
    .uses_dynamic_stack: false
    .vgpr_count:     202
    .vgpr_spill_count: 0
    .wavefront_size: 64
amdhsa.target:   amdgcn-amd-amdhsa--gfx950
amdhsa.version:
  - 1
  - 2
...

	.end_amdgpu_metadata
